;; amdgpu-corpus repo=ROCm/rocFFT kind=compiled arch=gfx950 opt=O3
	.text
	.amdgcn_target "amdgcn-amd-amdhsa--gfx950"
	.amdhsa_code_object_version 6
	.protected	bluestein_single_fwd_len351_dim1_sp_op_CI_CI ; -- Begin function bluestein_single_fwd_len351_dim1_sp_op_CI_CI
	.globl	bluestein_single_fwd_len351_dim1_sp_op_CI_CI
	.p2align	8
	.type	bluestein_single_fwd_len351_dim1_sp_op_CI_CI,@function
bluestein_single_fwd_len351_dim1_sp_op_CI_CI: ; @bluestein_single_fwd_len351_dim1_sp_op_CI_CI
; %bb.0:
	s_load_dwordx4 s[8:11], s[0:1], 0x28
	v_mul_u32_u24_e32 v1, 0x691, v0
	v_lshrrev_b32_e32 v2, 16, v1
	v_mad_u64_u32 v[48:49], s[2:3], s2, 3, v[2:3]
	v_mov_b32_e32 v49, 0
	s_waitcnt lgkmcnt(0)
	v_cmp_gt_u64_e32 vcc, s[8:9], v[48:49]
	s_and_saveexec_b64 s[2:3], vcc
	s_cbranch_execz .LBB0_15
; %bb.1:
	v_mul_lo_u16_e32 v1, 39, v2
	s_mov_b32 s2, 0xaaaaaaab
	v_sub_u16_e32 v50, v0, v1
	v_mul_hi_u32 v0, v48, s2
	s_load_dwordx2 s[8:9], s[0:1], 0x0
	s_load_dwordx2 s[12:13], s[0:1], 0x38
	v_lshrrev_b32_e32 v0, 1, v0
	v_lshl_add_u32 v0, v0, 1, v0
	v_sub_u32_e32 v0, v48, v0
	v_mul_u32_u24_e32 v158, 0x15f, v0
	v_cmp_gt_u16_e32 vcc, 27, v50
	v_lshlrev_b32_e32 v49, 3, v50
	v_lshlrev_b32_e32 v51, 3, v158
	s_and_saveexec_b64 s[2:3], vcc
	s_cbranch_execz .LBB0_3
; %bb.2:
	s_load_dwordx2 s[4:5], s[0:1], 0x18
	v_mov_b32_e32 v0, s10
	v_mov_b32_e32 v1, s11
	;; [unrolled: 1-line block ×3, first 2 shown]
	v_lshl_add_u32 v58, v50, 3, v51
	s_waitcnt lgkmcnt(0)
	s_load_dwordx4 s[4:7], s[4:5], 0x0
	v_add_u32_e32 v59, v51, v49
	s_waitcnt lgkmcnt(0)
	v_mad_u64_u32 v[2:3], s[10:11], s6, v48, 0
	v_mad_u64_u32 v[4:5], s[10:11], s4, v50, 0
	v_mov_b32_e32 v6, v3
	v_mov_b32_e32 v8, v5
	v_mad_u64_u32 v[6:7], s[6:7], s7, v48, v[6:7]
	v_mov_b32_e32 v3, v6
	v_mad_u64_u32 v[6:7], s[6:7], s5, v50, v[8:9]
	v_mov_b32_e32 v5, v6
	v_lshl_add_u64 v[0:1], v[2:3], 3, v[0:1]
	v_lshl_add_u64 v[0:1], v[4:5], 3, v[0:1]
	global_load_dwordx2 v[2:3], v[0:1], off
	v_mad_u64_u32 v[0:1], s[6:7], s4, v54, v[0:1]
	s_mul_i32 s10, s5, 0xd8
	v_add_u32_e32 v1, s10, v1
	global_load_dwordx2 v[4:5], v[0:1], off
	global_load_dwordx2 v[6:7], v49, s[8:9]
	v_mad_u64_u32 v[0:1], s[6:7], s4, v54, v[0:1]
	v_add_u32_e32 v1, s10, v1
	v_mad_u64_u32 v[8:9], s[6:7], s4, v54, v[0:1]
	v_add_u32_e32 v9, s10, v9
	global_load_dwordx2 v[10:11], v49, s[8:9] offset:216
	global_load_dwordx2 v[12:13], v49, s[8:9] offset:432
	;; [unrolled: 1-line block ×3, first 2 shown]
	global_load_dwordx2 v[16:17], v[0:1], off
	v_mad_u64_u32 v[0:1], s[6:7], s4, v54, v[8:9]
	v_add_u32_e32 v1, s10, v1
	global_load_dwordx2 v[18:19], v[8:9], off
	global_load_dwordx2 v[20:21], v[0:1], off
	v_mad_u64_u32 v[0:1], s[6:7], s4, v54, v[0:1]
	v_add_u32_e32 v1, s10, v1
	global_load_dwordx2 v[8:9], v49, s[8:9] offset:864
	global_load_dwordx2 v[22:23], v[0:1], off
	v_mad_u64_u32 v[0:1], s[6:7], s4, v54, v[0:1]
	v_add_u32_e32 v1, s10, v1
	global_load_dwordx2 v[24:25], v49, s[8:9] offset:1080
	global_load_dwordx2 v[26:27], v[0:1], off
	v_mad_u64_u32 v[0:1], s[6:7], s4, v54, v[0:1]
	v_add_u32_e32 v1, s10, v1
	global_load_dwordx2 v[28:29], v49, s[8:9] offset:1296
	global_load_dwordx2 v[30:31], v[0:1], off
	global_load_dwordx2 v[32:33], v49, s[8:9] offset:1512
	v_mad_u64_u32 v[0:1], s[6:7], s4, v54, v[0:1]
	v_add_u32_e32 v1, s10, v1
	global_load_dwordx2 v[34:35], v[0:1], off
	global_load_dwordx2 v[36:37], v49, s[8:9] offset:1728
	v_mad_u64_u32 v[0:1], s[6:7], s4, v54, v[0:1]
	v_add_u32_e32 v1, s10, v1
	;; [unrolled: 4-line block ×5, first 2 shown]
	global_load_dwordx2 v[54:55], v49, s[8:9] offset:2592
	global_load_dwordx2 v[56:57], v[0:1], off
	s_waitcnt vmcnt(23)
	v_mul_f32_e32 v1, v2, v7
	v_mul_f32_e32 v0, v3, v7
	v_fma_f32 v1, v3, v6, -v1
	v_fmac_f32_e32 v0, v2, v6
	ds_write_b64 v58, v[0:1]
	s_waitcnt vmcnt(22)
	v_mul_f32_e32 v0, v5, v11
	v_mul_f32_e32 v1, v4, v11
	s_waitcnt vmcnt(19)
	v_mul_f32_e32 v2, v17, v13
	v_mul_f32_e32 v3, v16, v13
	v_fmac_f32_e32 v0, v4, v10
	v_fma_f32 v1, v5, v10, -v1
	v_fmac_f32_e32 v2, v16, v12
	v_fma_f32 v3, v17, v12, -v3
	ds_write2_b64 v59, v[0:1], v[2:3] offset0:27 offset1:54
	s_waitcnt vmcnt(18)
	v_mul_f32_e32 v0, v19, v15
	v_mul_f32_e32 v1, v18, v15
	s_waitcnt vmcnt(16)
	v_mul_f32_e32 v2, v21, v9
	v_mul_f32_e32 v3, v20, v9
	v_fmac_f32_e32 v0, v18, v14
	v_fma_f32 v1, v19, v14, -v1
	v_fmac_f32_e32 v2, v20, v8
	v_fma_f32 v3, v21, v8, -v3
	ds_write2_b64 v59, v[0:1], v[2:3] offset0:81 offset1:108
	;; [unrolled: 11-line block ×4, first 2 shown]
	s_waitcnt vmcnt(6)
	v_mul_f32_e32 v0, v39, v41
	v_mul_f32_e32 v1, v38, v41
	s_waitcnt vmcnt(4)
	v_mul_f32_e32 v2, v43, v45
	v_mul_f32_e32 v3, v42, v45
	v_fmac_f32_e32 v0, v38, v40
	v_fma_f32 v1, v39, v40, -v1
	v_fmac_f32_e32 v2, v42, v44
	v_fma_f32 v3, v43, v44, -v3
	v_add_u32_e32 v4, 0x400, v59
	ds_write2_b64 v4, v[0:1], v[2:3] offset0:115 offset1:142
	s_waitcnt vmcnt(2)
	v_mul_f32_e32 v0, v47, v53
	v_mul_f32_e32 v1, v46, v53
	s_waitcnt vmcnt(0)
	v_mul_f32_e32 v2, v57, v55
	v_mul_f32_e32 v3, v56, v55
	v_fmac_f32_e32 v0, v46, v52
	v_fma_f32 v1, v47, v52, -v1
	v_fmac_f32_e32 v2, v56, v54
	v_fma_f32 v3, v57, v54, -v3
	v_add_u32_e32 v4, 0x800, v59
	ds_write2_b64 v4, v[0:1], v[2:3] offset0:41 offset1:68
.LBB0_3:
	s_or_b64 exec, exec, s[2:3]
	s_load_dwordx2 s[2:3], s[0:1], 0x20
	s_load_dwordx2 s[4:5], s[0:1], 0x8
	v_mov_b64_e32 v[0:1], 0
	s_waitcnt lgkmcnt(0)
	s_barrier
	s_waitcnt lgkmcnt(0)
                                        ; implicit-def: $vgpr6
                                        ; implicit-def: $vgpr12
                                        ; implicit-def: $vgpr10
                                        ; implicit-def: $vgpr20
                                        ; implicit-def: $vgpr18
                                        ; implicit-def: $vgpr34
	s_and_saveexec_b64 s[0:1], vcc
	s_cbranch_execz .LBB0_5
; %bb.4:
	v_lshl_add_u32 v24, v158, 3, v49
	ds_read2_b64 v[0:3], v24 offset1:27
	ds_read2_b64 v[16:19], v24 offset0:54 offset1:81
	ds_read2_b64 v[8:11], v24 offset0:108 offset1:135
	;; [unrolled: 1-line block ×4, first 2 shown]
	v_add_u32_e32 v20, 0x800, v24
	ds_read2_b64 v[20:23], v20 offset0:14 offset1:41
	ds_read_b64 v[34:35], v24 offset:2592
.LBB0_5:
	s_or_b64 exec, exec, s[0:1]
	s_waitcnt lgkmcnt(0)
	v_pk_add_f32 v[26:27], v[2:3], v[34:35] neg_lo:[0,1] neg_hi:[0,1]
	s_mov_b32 s14, 0xbeedf032
	v_pk_add_f32 v[24:25], v[34:35], v[2:3]
	v_pk_add_f32 v[60:61], v[16:17], v[22:23] neg_lo:[0,1] neg_hi:[0,1]
	s_mov_b32 s16, 0x3f62ad3f
	v_pk_mul_f32 v[30:31], v[26:27], s[14:15] op_sel_hi:[1,0]
	s_mov_b32 s24, 0xbf52af12
	v_pk_add_f32 v[32:33], v[22:23], v[16:17]
	v_pk_fma_f32 v[74:75], v[24:25], s[16:17], v[30:31] op_sel:[0,0,1] op_sel_hi:[1,0,0]
	v_pk_fma_f32 v[68:69], v[24:25], s[16:17], v[30:31] op_sel:[0,0,1] op_sel_hi:[1,0,0] neg_lo:[0,0,1] neg_hi:[0,0,1]
	s_mov_b32 s14, 0x3f116cb1
	v_pk_mul_f32 v[38:39], v[60:61], s[24:25] op_sel:[1,0] op_sel_hi:[0,0]
	v_mov_b32_e32 v30, v74
	v_mov_b32_e32 v31, v69
	v_pk_fma_f32 v[82:83], v[32:33], s[14:15], v[38:39] op_sel_hi:[1,0,1]
	v_pk_fma_f32 v[80:81], v[32:33], s[14:15], v[38:39] op_sel_hi:[1,0,1] neg_lo:[0,0,1] neg_hi:[0,0,1]
	s_mov_b32 s10, 0xbf6f5d39
	v_pk_add_f32 v[30:31], v[30:31], v[0:1]
	v_pk_mul_f32 v[36:37], v[26:27], s[24:25] op_sel_hi:[1,0]
	v_mov_b32_e32 v38, v82
	v_mov_b32_e32 v39, v81
	s_mov_b32 s6, 0xbeb58ec6
	v_pk_fma_f32 v[46:47], v[24:25], s[14:15], v[36:37] op_sel:[0,0,1] op_sel_hi:[1,0,0]
	v_pk_fma_f32 v[56:57], v[24:25], s[14:15], v[36:37] op_sel:[0,0,1] op_sel_hi:[1,0,0] neg_lo:[0,0,1] neg_hi:[0,0,1]
	v_pk_add_f32 v[30:31], v[38:39], v[30:31]
	v_pk_mul_f32 v[38:39], v[60:61], s[10:11] op_sel:[1,0] op_sel_hi:[0,0]
	s_mov_b32 s28, 0xbf7e222b
	v_mov_b32_e32 v36, v46
	v_mov_b32_e32 v37, v57
	v_pk_fma_f32 v[70:71], v[32:33], s[6:7], v[38:39] op_sel_hi:[1,0,1]
	v_pk_fma_f32 v[72:73], v[32:33], s[6:7], v[38:39] op_sel_hi:[1,0,1] neg_lo:[0,0,1] neg_hi:[0,0,1]
	s_mov_b32 s0, 0x3df6dbef
	v_pk_mul_f32 v[28:29], v[26:27], s[28:29] op_sel_hi:[1,0]
	v_pk_add_f32 v[36:37], v[36:37], v[0:1]
	v_mov_b32_e32 v38, v70
	v_mov_b32_e32 v39, v73
	s_mov_b32 s22, 0xbe750f2a
	v_pk_add_f32 v[38:39], v[38:39], v[36:37]
	v_pk_fma_f32 v[88:89], v[24:25], s[0:1], v[28:29] op_sel:[0,0,1] op_sel_hi:[1,0,0]
	v_pk_fma_f32 v[62:63], v[24:25], s[0:1], v[28:29] op_sel:[0,0,1] op_sel_hi:[1,0,0] neg_lo:[0,0,1] neg_hi:[0,0,1]
	s_mov_b32 s18, 0xbf788fa5
	v_pk_mul_f32 v[36:37], v[60:61], s[22:23] op_sel:[1,0] op_sel_hi:[0,0]
	v_mov_b32_e32 v28, v88
	v_mov_b32_e32 v29, v63
	v_pk_fma_f32 v[64:65], v[32:33], s[18:19], v[36:37] op_sel_hi:[1,0,1]
	v_pk_fma_f32 v[66:67], v[32:33], s[18:19], v[36:37] op_sel_hi:[1,0,1] neg_lo:[0,0,1] neg_hi:[0,0,1]
	v_pk_add_f32 v[28:29], v[28:29], v[0:1]
	v_mov_b32_e32 v36, v64
	v_mov_b32_e32 v37, v67
	v_pk_add_f32 v[28:29], v[36:37], v[28:29]
	v_pk_mul_f32 v[36:37], v[26:27], s[10:11] op_sel_hi:[1,0]
	s_mov_b32 s30, 0x3f29c268
	v_pk_fma_f32 v[102:103], v[24:25], s[6:7], v[36:37] op_sel:[0,0,1] op_sel_hi:[1,0,0]
	v_pk_fma_f32 v[44:45], v[24:25], s[6:7], v[36:37] op_sel:[0,0,1] op_sel_hi:[1,0,0] neg_lo:[0,0,1] neg_hi:[0,0,1]
	s_mov_b32 s20, 0xbf3f9e67
	v_pk_mul_f32 v[36:37], v[60:61], s[30:31] op_sel:[1,0] op_sel_hi:[0,0]
	v_pk_fma_f32 v[108:109], v[32:33], s[20:21], v[36:37] op_sel_hi:[1,0,1]
	v_pk_fma_f32 v[58:59], v[32:33], s[20:21], v[36:37] op_sel_hi:[1,0,1] neg_lo:[0,0,1] neg_hi:[0,0,1]
	v_mov_b32_e32 v36, v102
	v_mov_b32_e32 v37, v45
	v_pk_add_f32 v[36:37], v[36:37], v[0:1]
	v_mov_b32_e32 v40, v108
	v_mov_b32_e32 v41, v59
	v_pk_add_f32 v[118:119], v[18:19], v[20:21] neg_lo:[0,1] neg_hi:[0,1]
	v_pk_add_f32 v[40:41], v[40:41], v[36:37]
	v_pk_add_f32 v[36:37], v[20:21], v[18:19]
	v_pk_mul_f32 v[42:43], v[118:119], s[28:29] op_sel:[1,0] op_sel_hi:[0,0]
	v_pk_fma_f32 v[104:105], v[36:37], s[0:1], v[42:43] op_sel_hi:[1,0,1]
	v_pk_fma_f32 v[106:107], v[36:37], s[0:1], v[42:43] op_sel_hi:[1,0,1] neg_lo:[0,0,1] neg_hi:[0,0,1]
	v_mov_b32_e32 v42, v104
	v_mov_b32_e32 v43, v107
	v_pk_add_f32 v[30:31], v[42:43], v[30:31]
	v_pk_mul_f32 v[42:43], v[118:119], s[22:23] op_sel:[1,0] op_sel_hi:[0,0]
	v_pk_fma_f32 v[90:91], v[36:37], s[18:19], v[42:43] op_sel_hi:[1,0,1]
	v_pk_fma_f32 v[96:97], v[36:37], s[18:19], v[42:43] op_sel_hi:[1,0,1] neg_lo:[0,0,1] neg_hi:[0,0,1]
	v_mov_b32_e32 v42, v90
	v_mov_b32_e32 v43, v97
	s_mov_b32 s26, 0x3f6f5d39
	v_pk_add_f32 v[42:43], v[42:43], v[38:39]
	v_pk_mul_f32 v[38:39], v[118:119], s[26:27] op_sel:[1,0] op_sel_hi:[0,0]
	v_pk_fma_f32 v[84:85], v[36:37], s[6:7], v[38:39] op_sel_hi:[1,0,1]
	v_pk_fma_f32 v[86:87], v[36:37], s[6:7], v[38:39] op_sel_hi:[1,0,1] neg_lo:[0,0,1] neg_hi:[0,0,1]
	v_mov_b32_e32 v38, v84
	v_mov_b32_e32 v39, v87
	s_mov_b32 s26, 0x3eedf032
	v_pk_add_f32 v[28:29], v[38:39], v[28:29]
	v_pk_mul_f32 v[38:39], v[118:119], s[26:27] op_sel:[1,0] op_sel_hi:[0,0]
	v_pk_fma_f32 v[76:77], v[36:37], s[16:17], v[38:39] op_sel_hi:[1,0,1]
	v_pk_fma_f32 v[78:79], v[36:37], s[16:17], v[38:39] op_sel_hi:[1,0,1] neg_lo:[0,0,1] neg_hi:[0,0,1]
	v_mov_b32_e32 v38, v76
	v_mov_b32_e32 v39, v79
	v_pk_add_f32 v[138:139], v[8:9], v[14:15] neg_lo:[0,1] neg_hi:[0,1]
	v_pk_add_f32 v[40:41], v[38:39], v[40:41]
	v_pk_add_f32 v[38:39], v[14:15], v[8:9]
	v_pk_mul_f32 v[52:53], v[138:139], s[10:11] op_sel:[1,0] op_sel_hi:[0,0]
	v_pk_fma_f32 v[124:125], v[38:39], s[6:7], v[52:53] op_sel_hi:[1,0,1]
	v_pk_fma_f32 v[126:127], v[38:39], s[6:7], v[52:53] op_sel_hi:[1,0,1] neg_lo:[0,0,1] neg_hi:[0,0,1]
	v_mov_b32_e32 v52, v124
	v_mov_b32_e32 v53, v127
	v_pk_add_f32 v[30:31], v[52:53], v[30:31]
	v_pk_mul_f32 v[52:53], v[138:139], s[30:31] op_sel:[1,0] op_sel_hi:[0,0]
	v_pk_fma_f32 v[110:111], v[38:39], s[20:21], v[52:53] op_sel_hi:[1,0,1]
	v_pk_fma_f32 v[112:113], v[38:39], s[20:21], v[52:53] op_sel_hi:[1,0,1] neg_lo:[0,0,1] neg_hi:[0,0,1]
	v_mov_b32_e32 v52, v110
	v_mov_b32_e32 v53, v113
	;; [unrolled: 6-line block ×4, first 2 shown]
	s_mov_b32 s34, 0xbf29c268
	v_pk_add_f32 v[150:151], v[10:11], v[12:13] neg_lo:[0,1] neg_hi:[0,1]
	v_pk_add_f32 v[52:53], v[52:53], v[40:41]
	v_pk_add_f32 v[40:41], v[12:13], v[10:11]
	v_pk_mul_f32 v[54:55], v[150:151], s[34:35] op_sel:[1,0] op_sel_hi:[0,0]
	v_pk_fma_f32 v[142:143], v[40:41], s[20:21], v[54:55] op_sel_hi:[1,0,1]
	v_pk_fma_f32 v[144:145], v[40:41], s[20:21], v[54:55] op_sel_hi:[1,0,1] neg_lo:[0,0,1] neg_hi:[0,0,1]
	v_mov_b32_e32 v54, v142
	v_mov_b32_e32 v55, v145
	s_mov_b32 s30, 0x3f7e222b
	v_pk_add_f32 v[30:31], v[54:55], v[30:31]
	v_pk_mul_f32 v[54:55], v[150:151], s[30:31] op_sel:[1,0] op_sel_hi:[0,0]
	v_pk_fma_f32 v[128:129], v[40:41], s[0:1], v[54:55] op_sel_hi:[1,0,1]
	v_pk_fma_f32 v[134:135], v[40:41], s[0:1], v[54:55] op_sel_hi:[1,0,1] neg_lo:[0,0,1] neg_hi:[0,0,1]
	v_mov_b32_e32 v54, v128
	v_mov_b32_e32 v55, v135
	v_pk_add_f32 v[54:55], v[54:55], v[42:43]
	v_pk_mul_f32 v[42:43], v[150:151], s[24:25] op_sel:[1,0] op_sel_hi:[0,0]
	v_pk_fma_f32 v[120:121], v[40:41], s[14:15], v[42:43] op_sel_hi:[1,0,1]
	v_pk_fma_f32 v[122:123], v[40:41], s[14:15], v[42:43] op_sel_hi:[1,0,1] neg_lo:[0,0,1] neg_hi:[0,0,1]
	v_mov_b32_e32 v42, v120
	v_mov_b32_e32 v43, v123
	s_mov_b32 s38, 0x3e750f2a
	v_pk_add_f32 v[130:131], v[42:43], v[28:29]
	v_pk_mul_f32 v[28:29], v[150:151], s[38:39] op_sel:[1,0] op_sel_hi:[0,0]
	v_pk_fma_f32 v[114:115], v[40:41], s[18:19], v[28:29] op_sel_hi:[1,0,1]
	v_pk_fma_f32 v[116:117], v[40:41], s[18:19], v[28:29] op_sel_hi:[1,0,1] neg_lo:[0,0,1] neg_hi:[0,0,1]
	v_mov_b32_e32 v28, v114
	v_mov_b32_e32 v29, v117
	v_pk_add_f32 v[152:153], v[4:5], v[6:7] neg_lo:[0,1] neg_hi:[0,1]
	v_pk_add_f32 v[154:155], v[28:29], v[52:53]
	v_pk_add_f32 v[42:43], v[6:7], v[4:5]
	v_pk_mul_f32 v[28:29], v[152:153], s[26:27] op_sel:[1,0] op_sel_hi:[0,0]
	v_pk_fma_f32 v[146:147], v[42:43], s[16:17], v[28:29] op_sel_hi:[1,0,1]
	v_pk_fma_f32 v[148:149], v[42:43], s[16:17], v[28:29] op_sel_hi:[1,0,1] neg_lo:[0,0,1] neg_hi:[0,0,1]
	v_pk_mul_f32 v[52:53], v[152:153], s[34:35] op_sel:[1,0] op_sel_hi:[0,0]
	v_mov_b32_e32 v28, v146
	v_mov_b32_e32 v29, v149
	v_pk_fma_f32 v[136:137], v[42:43], s[20:21], v[52:53] op_sel_hi:[1,0,1]
	v_pk_fma_f32 v[140:141], v[42:43], s[20:21], v[52:53] op_sel_hi:[1,0,1] neg_lo:[0,0,1] neg_hi:[0,0,1]
	s_mov_b32 s36, 0x3f52af12
	v_pk_add_f32 v[28:29], v[28:29], v[54:55]
	v_mov_b32_e32 v52, v136
	v_mov_b32_e32 v53, v141
	v_pk_mul_f32 v[54:55], v[152:153], s[36:37] op_sel:[1,0] op_sel_hi:[0,0]
	v_pk_add_f32 v[52:53], v[52:53], v[130:131]
	v_pk_fma_f32 v[130:131], v[42:43], s[14:15], v[54:55] op_sel_hi:[1,0,1]
	v_pk_fma_f32 v[132:133], v[42:43], s[14:15], v[54:55] op_sel_hi:[1,0,1] neg_lo:[0,0,1] neg_hi:[0,0,1]
	v_mov_b32_e32 v54, v130
	v_mov_b32_e32 v55, v133
	v_pk_mul_f32 v[156:157], v[152:153], s[22:23] op_sel:[1,0] op_sel_hi:[0,0]
	v_pk_add_f32 v[54:55], v[54:55], v[154:155]
	v_pk_fma_f32 v[154:155], v[42:43], s[18:19], v[156:157] op_sel_hi:[1,0,1]
	v_pk_fma_f32 v[156:157], v[42:43], s[18:19], v[156:157] op_sel_hi:[1,0,1] neg_lo:[0,0,1] neg_hi:[0,0,1]
	v_mov_b32_e32 v160, v154
	v_mov_b32_e32 v161, v157
	v_pk_add_f32 v[30:31], v[160:161], v[30:31]
	v_mul_lo_u16_e32 v88, 13, v50
	s_barrier
	s_and_saveexec_b64 s[28:29], vcc
	s_cbranch_execz .LBB0_7
; %bb.6:
	v_pk_add_f32 v[2:3], v[2:3], v[0:1]
	v_mov_b32_e32 v69, v75
	v_pk_add_f32 v[2:3], v[16:17], v[2:3]
	v_mov_b32_e32 v81, v83
	;; [unrolled: 2-line block ×8, first 2 shown]
	v_pk_add_f32 v[2:3], v[14:15], v[2:3]
	v_pk_add_f32 v[14:15], v[68:69], v[0:1]
	v_pk_add_f32 v[2:3], v[20:21], v[2:3]
	v_pk_add_f32 v[14:15], v[80:81], v[14:15]
	v_pk_add_f32 v[2:3], v[22:23], v[2:3]
	v_pk_add_f32 v[14:15], v[106:107], v[14:15]
	v_pk_add_f32 v[2:3], v[34:35], v[2:3]
	v_pk_add_f32 v[14:15], v[126:127], v[14:15]
	v_add_lshl_u32 v68, v158, v88, 3
	v_pk_add_f32 v[14:15], v[144:145], v[14:15]
	v_mov_b32_e32 v73, v71
	v_pk_add_f32 v[14:15], v[156:157], v[14:15]
	ds_write2_b64 v68, v[2:3], v[14:15] offset1:1
	v_pk_add_f32 v[2:3], v[56:57], v[0:1]
	v_pk_add_f32 v[14:15], v[62:63], v[0:1]
	v_mov_b32_e32 v67, v65
	v_pk_add_f32 v[2:3], v[72:73], v[2:3]
	v_mov_b32_e32 v97, v91
	;; [unrolled: 2-line block ×9, first 2 shown]
	v_pk_add_f32 v[2:3], v[148:149], v[2:3]
	v_pk_add_f32 v[14:15], v[140:141], v[14:15]
	v_mov_b32_e32 v4, v61
	v_mov_b32_e32 v5, v60
	ds_write2_b64 v68, v[2:3], v[14:15] offset0:2 offset1:3
	v_pk_mul_f32 v[14:15], v[26:27], s[34:35] op_sel_hi:[1,0]
	v_pk_mul_f32 v[20:21], v[4:5], s[30:31] op_sel_hi:[1,0]
	v_pk_fma_f32 v[16:17], v[24:25], s[20:21], v[14:15] op_sel:[0,0,1] op_sel_hi:[1,0,0] neg_lo:[0,0,1] neg_hi:[0,0,1]
	v_pk_fma_f32 v[14:15], v[24:25], s[20:21], v[14:15] op_sel:[0,0,1] op_sel_hi:[1,0,0]
	v_mov_b32_e32 v18, v16
	v_mov_b32_e32 v19, v15
	v_pk_fma_f32 v[22:23], v[32:33], s[0:1], v[20:21] op_sel_hi:[1,0,1] neg_lo:[0,0,1] neg_hi:[0,0,1]
	v_pk_fma_f32 v[20:21], v[32:33], s[0:1], v[20:21] op_sel_hi:[1,0,1]
	v_mov_b32_e32 v6, v119
	v_mov_b32_e32 v7, v118
	v_pk_add_f32 v[18:19], v[18:19], v[0:1]
	v_mov_b32_e32 v34, v22
	v_mov_b32_e32 v35, v21
	;; [unrolled: 1-line block ×3, first 2 shown]
	v_pk_add_f32 v[18:19], v[34:35], v[18:19]
	v_pk_mul_f32 v[34:35], v[6:7], s[24:25] op_sel_hi:[1,0]
	v_pk_add_f32 v[2:3], v[44:45], v[0:1]
	v_pk_fma_f32 v[44:45], v[36:37], s[14:15], v[34:35] op_sel_hi:[1,0,1] neg_lo:[0,0,1] neg_hi:[0,0,1]
	v_pk_fma_f32 v[34:35], v[36:37], s[14:15], v[34:35] op_sel_hi:[1,0,1]
	v_mov_b32_e32 v8, v139
	v_mov_b32_e32 v9, v138
	;; [unrolled: 1-line block ×4, first 2 shown]
	v_pk_add_f32 v[18:19], v[46:47], v[18:19]
	v_pk_mul_f32 v[46:47], v[8:9], s[38:39] op_sel_hi:[1,0]
	v_mov_b32_e32 v59, v109
	v_pk_fma_f32 v[56:57], v[38:39], s[18:19], v[46:47] op_sel_hi:[1,0,1] neg_lo:[0,0,1] neg_hi:[0,0,1]
	v_pk_fma_f32 v[46:47], v[38:39], s[18:19], v[46:47] op_sel_hi:[1,0,1]
	v_mov_b32_e32 v10, v151
	v_mov_b32_e32 v11, v150
	v_pk_add_f32 v[2:3], v[58:59], v[2:3]
	v_mov_b32_e32 v58, v56
	v_mov_b32_e32 v59, v47
	v_pk_add_f32 v[18:19], v[58:59], v[18:19]
	v_pk_mul_f32 v[58:59], v[10:11], s[26:27] op_sel_hi:[1,0]
	v_mov_b32_e32 v12, v153
	v_pk_fma_f32 v[60:61], v[40:41], s[16:17], v[58:59] op_sel_hi:[1,0,1] neg_lo:[0,0,1] neg_hi:[0,0,1]
	v_pk_fma_f32 v[58:59], v[40:41], s[16:17], v[58:59] op_sel_hi:[1,0,1]
	v_mov_b32_e32 v13, v152
	v_mov_b32_e32 v79, v77
	;; [unrolled: 1-line block ×4, first 2 shown]
	v_pk_add_f32 v[2:3], v[78:79], v[2:3]
	v_mov_b32_e32 v95, v93
	v_pk_add_f32 v[18:19], v[62:63], v[18:19]
	v_pk_mul_f32 v[62:63], v[12:13], s[10:11] op_sel_hi:[1,0]
	v_pk_add_f32 v[2:3], v[94:95], v[2:3]
	v_mov_b32_e32 v117, v115
	v_pk_fma_f32 v[64:65], v[42:43], s[6:7], v[62:63] op_sel_hi:[1,0,1] neg_lo:[0,0,1] neg_hi:[0,0,1]
	v_pk_fma_f32 v[62:63], v[42:43], s[6:7], v[62:63] op_sel_hi:[1,0,1]
	v_pk_add_f32 v[2:3], v[116:117], v[2:3]
	v_mov_b32_e32 v133, v131
	v_mov_b32_e32 v66, v64
	;; [unrolled: 1-line block ×3, first 2 shown]
	v_pk_add_f32 v[2:3], v[132:133], v[2:3]
	v_pk_add_f32 v[18:19], v[66:67], v[18:19]
	ds_write2_b64 v68, v[2:3], v[18:19] offset0:4 offset1:5
	v_pk_mul_f32 v[2:3], v[26:27], s[22:23] op_sel_hi:[1,0]
	v_pk_mul_f32 v[4:5], v[4:5], s[26:27] op_sel_hi:[1,0]
	v_pk_fma_f32 v[18:19], v[24:25], s[18:19], v[2:3] op_sel:[0,0,1] op_sel_hi:[1,0,0] neg_lo:[0,0,1] neg_hi:[0,0,1]
	v_pk_fma_f32 v[2:3], v[24:25], s[18:19], v[2:3] op_sel:[0,0,1] op_sel_hi:[1,0,0]
	v_mov_b32_e32 v24, v18
	v_mov_b32_e32 v25, v3
	v_pk_fma_f32 v[26:27], v[32:33], s[16:17], v[4:5] op_sel_hi:[1,0,1] neg_lo:[0,0,1] neg_hi:[0,0,1]
	v_pk_fma_f32 v[4:5], v[32:33], s[16:17], v[4:5] op_sel_hi:[1,0,1]
	v_pk_add_f32 v[24:25], v[24:25], v[0:1]
	v_mov_b32_e32 v32, v26
	v_mov_b32_e32 v33, v5
	v_pk_mul_f32 v[6:7], v[6:7], s[34:35] op_sel_hi:[1,0]
	v_pk_add_f32 v[24:25], v[32:33], v[24:25]
	v_pk_fma_f32 v[32:33], v[36:37], s[20:21], v[6:7] op_sel_hi:[1,0,1] neg_lo:[0,0,1] neg_hi:[0,0,1]
	v_pk_fma_f32 v[6:7], v[36:37], s[20:21], v[6:7] op_sel_hi:[1,0,1]
	v_mov_b32_e32 v36, v32
	v_mov_b32_e32 v37, v7
	v_pk_mul_f32 v[8:9], v[8:9], s[36:37] op_sel_hi:[1,0]
	v_pk_add_f32 v[24:25], v[36:37], v[24:25]
	v_pk_fma_f32 v[36:37], v[38:39], s[14:15], v[8:9] op_sel_hi:[1,0,1] neg_lo:[0,0,1] neg_hi:[0,0,1]
	v_pk_fma_f32 v[8:9], v[38:39], s[14:15], v[8:9] op_sel_hi:[1,0,1]
	v_mov_b32_e32 v3, v19
	v_mov_b32_e32 v15, v17
	;; [unrolled: 1-line block ×4, first 2 shown]
	v_pk_mul_f32 v[10:11], v[10:11], s[10:11] op_sel_hi:[1,0]
	v_pk_add_f32 v[2:3], v[2:3], v[0:1]
	v_mov_b32_e32 v5, v27
	v_pk_add_f32 v[0:1], v[14:15], v[0:1]
	v_mov_b32_e32 v21, v23
	v_pk_add_f32 v[24:25], v[38:39], v[24:25]
	v_pk_fma_f32 v[38:39], v[40:41], s[6:7], v[10:11] op_sel_hi:[1,0,1] neg_lo:[0,0,1] neg_hi:[0,0,1]
	v_pk_fma_f32 v[10:11], v[40:41], s[6:7], v[10:11] op_sel_hi:[1,0,1]
	v_pk_add_f32 v[2:3], v[4:5], v[2:3]
	v_mov_b32_e32 v7, v33
	v_pk_add_f32 v[0:1], v[20:21], v[0:1]
	v_mov_b32_e32 v35, v45
	v_mov_b32_e32 v40, v38
	;; [unrolled: 1-line block ×3, first 2 shown]
	v_pk_mul_f32 v[12:13], v[12:13], s[30:31] op_sel_hi:[1,0]
	v_pk_add_f32 v[2:3], v[6:7], v[2:3]
	v_mov_b32_e32 v9, v37
	v_pk_add_f32 v[0:1], v[34:35], v[0:1]
	v_mov_b32_e32 v47, v57
	v_pk_add_f32 v[24:25], v[40:41], v[24:25]
	v_pk_fma_f32 v[40:41], v[42:43], s[0:1], v[12:13] op_sel_hi:[1,0,1] neg_lo:[0,0,1] neg_hi:[0,0,1]
	v_pk_fma_f32 v[12:13], v[42:43], s[0:1], v[12:13] op_sel_hi:[1,0,1]
	v_pk_add_f32 v[2:3], v[8:9], v[2:3]
	v_mov_b32_e32 v11, v39
	v_pk_add_f32 v[0:1], v[46:47], v[0:1]
	v_mov_b32_e32 v59, v61
	v_mov_b32_e32 v42, v40
	;; [unrolled: 1-line block ×3, first 2 shown]
	v_pk_add_f32 v[2:3], v[10:11], v[2:3]
	v_mov_b32_e32 v13, v41
	v_pk_add_f32 v[0:1], v[58:59], v[0:1]
	v_mov_b32_e32 v63, v65
	v_pk_add_f32 v[24:25], v[42:43], v[24:25]
	v_pk_add_f32 v[2:3], v[12:13], v[2:3]
	;; [unrolled: 1-line block ×3, first 2 shown]
	ds_write2_b64 v68, v[24:25], v[2:3] offset0:6 offset1:7
	ds_write2_b64 v68, v[0:1], v[54:55] offset0:8 offset1:9
	;; [unrolled: 1-line block ×3, first 2 shown]
	ds_write_b64 v68, v[30:31] offset:96
.LBB0_7:
	s_or_b64 exec, exec, s[28:29]
	s_movk_i32 s6, 0x4f
	v_add_u16_e32 v1, 39, v50
	v_mul_lo_u16_sdwa v2, v1, s6 dst_sel:DWORD dst_unused:UNUSED_PAD src0_sel:BYTE_0 src1_sel:DWORD
	v_lshrrev_b16_e32 v36, 10, v2
	v_mul_lo_u16_e32 v2, 13, v36
	v_sub_u16_e32 v37, v1, v2
	v_add_u16_e32 v1, 0x4e, v50
	v_mul_lo_u16_sdwa v0, v50, s6 dst_sel:DWORD dst_unused:UNUSED_PAD src0_sel:BYTE_0 src1_sel:DWORD
	v_mul_lo_u16_sdwa v2, v1, s6 dst_sel:DWORD dst_unused:UNUSED_PAD src0_sel:BYTE_0 src1_sel:DWORD
	v_lshrrev_b16_e32 v34, 10, v0
	v_lshrrev_b16_e32 v38, 10, v2
	v_mul_lo_u16_e32 v0, 13, v34
	v_mul_lo_u16_e32 v2, 13, v38
	v_sub_u16_e32 v35, v50, v0
	v_mov_b32_e32 v0, 4
	v_sub_u16_e32 v39, v1, v2
	v_lshlrev_b32_sdwa v1, v0, v39 dst_sel:DWORD dst_unused:UNUSED_PAD src0_sel:DWORD src1_sel:BYTE_0
	s_load_dwordx4 s[0:3], s[2:3], 0x0
	s_waitcnt lgkmcnt(0)
	s_barrier
	global_load_dwordx4 v[8:11], v1, s[4:5]
	v_lshlrev_b32_sdwa v1, v0, v37 dst_sel:DWORD dst_unused:UNUSED_PAD src0_sel:DWORD src1_sel:BYTE_0
	v_lshlrev_b32_sdwa v0, v0, v35 dst_sel:DWORD dst_unused:UNUSED_PAD src0_sel:DWORD src1_sel:BYTE_0
	global_load_dwordx4 v[4:7], v1, s[4:5]
	v_add_lshl_u32 v129, v158, v50, 3
	global_load_dwordx4 v[0:3], v0, s[4:5]
	v_add_u32_e32 v56, 0x400, v129
	ds_read2_b64 v[12:15], v129 offset0:78 offset1:117
	ds_read2_b64 v[16:19], v129 offset0:156 offset1:195
	ds_read_b64 v[32:33], v129 offset:2496
	ds_read2_b64 v[20:23], v129 offset1:39
	ds_read2_b64 v[24:27], v56 offset0:106 offset1:145
	v_mul_u32_u24_e32 v34, 39, v34
	v_mul_u32_u24_e32 v36, 39, v36
	;; [unrolled: 1-line block ×3, first 2 shown]
	v_add_u32_sdwa v34, v34, v35 dst_sel:DWORD dst_unused:UNUSED_PAD src0_sel:DWORD src1_sel:BYTE_0
	v_add_u32_sdwa v35, v36, v37 dst_sel:DWORD dst_unused:UNUSED_PAD src0_sel:DWORD src1_sel:BYTE_0
	;; [unrolled: 1-line block ×3, first 2 shown]
	v_add_lshl_u32 v132, v158, v34, 3
	v_add_lshl_u32 v131, v158, v35, 3
	;; [unrolled: 1-line block ×3, first 2 shown]
	s_mov_b32 s6, 0x3f5db3d7
	s_waitcnt lgkmcnt(0)
	s_barrier
	s_mov_b32 s14, 0x3eaf1d44
	s_mov_b32 s16, 0x3f708fb2
	;; [unrolled: 1-line block ×3, first 2 shown]
	v_lshl_add_u32 v128, v50, 3, v51
	v_lshl_add_u32 v133, v50, 3, v51
	s_waitcnt vmcnt(2)
	v_pk_mul_f32 v[34:35], v[18:19], v[8:9] op_sel:[0,1]
	v_mov_b32_e32 v36, v11
	v_pk_fma_f32 v[46:47], v[18:19], v[8:9], v[34:35] op_sel:[0,0,1] op_sel_hi:[1,1,0] neg_lo:[0,0,1] neg_hi:[0,0,1]
	s_waitcnt vmcnt(1)
	v_pk_mul_f32 v[38:39], v[16:17], v[4:5] op_sel:[0,1]
	v_mov_b32_e32 v40, v7
	s_waitcnt vmcnt(0)
	v_pk_mul_f32 v[42:43], v[14:15], v[0:1] op_sel:[0,1]
	v_mov_b32_e32 v44, v3
	v_pk_fma_f32 v[18:19], v[18:19], v[8:9], v[34:35] op_sel:[0,0,1] op_sel_hi:[1,0,0]
	v_pk_mul_f32 v[34:35], v[32:33], v[36:37] op_sel_hi:[1,0]
	v_pk_fma_f32 v[36:37], v[16:17], v[4:5], v[38:39] op_sel:[0,0,1] op_sel_hi:[1,1,0] neg_lo:[0,0,1] neg_hi:[0,0,1]
	v_pk_fma_f32 v[16:17], v[16:17], v[4:5], v[38:39] op_sel:[0,0,1] op_sel_hi:[1,0,0]
	v_pk_mul_f32 v[38:39], v[26:27], v[40:41] op_sel_hi:[1,0]
	v_pk_fma_f32 v[40:41], v[14:15], v[0:1], v[42:43] op_sel:[0,0,1] op_sel_hi:[1,1,0] neg_lo:[0,0,1] neg_hi:[0,0,1]
	v_pk_fma_f32 v[14:15], v[14:15], v[0:1], v[42:43] op_sel:[0,0,1] op_sel_hi:[1,0,0]
	v_pk_mul_f32 v[42:43], v[24:25], v[44:45] op_sel_hi:[1,0]
	v_mov_b32_e32 v41, v15
	v_pk_fma_f32 v[14:15], v[24:25], v[2:3], v[42:43] op_sel:[0,0,1] op_sel_hi:[1,1,0] neg_lo:[0,0,1] neg_hi:[0,0,1]
	v_pk_fma_f32 v[24:25], v[24:25], v[2:3], v[42:43] op_sel:[0,0,1] op_sel_hi:[1,0,0]
	v_mov_b32_e32 v47, v19
	v_mov_b32_e32 v15, v25
	v_pk_add_f32 v[24:25], v[20:21], v[40:41]
	v_pk_fma_f32 v[18:19], v[32:33], v[10:11], v[34:35] op_sel:[0,0,1] op_sel_hi:[1,1,0] neg_lo:[0,0,1] neg_hi:[0,0,1]
	v_pk_fma_f32 v[32:33], v[32:33], v[10:11], v[34:35] op_sel:[0,0,1] op_sel_hi:[1,0,0]
	v_mov_b32_e32 v37, v17
	v_pk_fma_f32 v[16:17], v[26:27], v[6:7], v[38:39] op_sel:[0,0,1] op_sel_hi:[1,1,0] neg_lo:[0,0,1] neg_hi:[0,0,1]
	v_pk_fma_f32 v[26:27], v[26:27], v[6:7], v[38:39] op_sel:[0,0,1] op_sel_hi:[1,0,0]
	v_pk_add_f32 v[24:25], v[24:25], v[14:15]
	v_pk_add_f32 v[34:35], v[40:41], v[14:15]
	v_pk_add_f32 v[14:15], v[40:41], v[14:15] neg_lo:[0,1] neg_hi:[0,1]
	v_mov_b32_e32 v17, v27
	v_pk_add_f32 v[26:27], v[22:23], v[36:37]
	v_pk_fma_f32 v[20:21], v[34:35], 0.5, v[20:21] op_sel_hi:[1,0,1] neg_lo:[1,0,0] neg_hi:[1,0,0]
	v_pk_mul_f32 v[14:15], v[14:15], s[6:7] op_sel_hi:[1,0]
	v_pk_add_f32 v[26:27], v[26:27], v[16:17]
	v_pk_add_f32 v[38:39], v[36:37], v[16:17]
	v_pk_add_f32 v[16:17], v[36:37], v[16:17] neg_lo:[0,1] neg_hi:[0,1]
	v_pk_add_f32 v[34:35], v[20:21], v[14:15] op_sel:[0,1] op_sel_hi:[1,0]
	v_pk_add_f32 v[14:15], v[20:21], v[14:15] op_sel:[0,1] op_sel_hi:[1,0] neg_lo:[0,1] neg_hi:[0,1]
	v_pk_fma_f32 v[22:23], v[38:39], 0.5, v[22:23] op_sel_hi:[1,0,1] neg_lo:[1,0,0] neg_hi:[1,0,0]
	v_pk_mul_f32 v[16:17], v[16:17], s[6:7] op_sel_hi:[1,0]
	v_mov_b32_e32 v36, v34
	v_mov_b32_e32 v37, v15
	;; [unrolled: 1-line block ×3, first 2 shown]
	v_pk_add_f32 v[20:21], v[22:23], v[16:17] op_sel:[0,1] op_sel_hi:[1,0]
	ds_write2_b64 v132, v[24:25], v[36:37] offset1:13
	ds_write_b64 v132, v[14:15] offset:208
	v_pk_add_f32 v[14:15], v[22:23], v[16:17] op_sel:[0,1] op_sel_hi:[1,0] neg_lo:[0,1] neg_hi:[0,1]
	v_mov_b32_e32 v19, v33
	v_mov_b32_e32 v17, v15
	v_mov_b32_e32 v15, v21
	ds_write_b64 v131, v[14:15] offset:208
	v_pk_add_f32 v[14:15], v[46:47], v[18:19]
	v_pk_add_f32 v[32:33], v[12:13], v[46:47]
	v_pk_fma_f32 v[12:13], v[14:15], 0.5, v[12:13] op_sel_hi:[1,0,1] neg_lo:[1,0,0] neg_hi:[1,0,0]
	v_pk_add_f32 v[14:15], v[46:47], v[18:19] neg_lo:[0,1] neg_hi:[0,1]
	v_mov_b32_e32 v16, v20
	v_pk_mul_f32 v[14:15], v[14:15], s[6:7] op_sel_hi:[1,0]
	ds_write2_b64 v131, v[26:27], v[16:17] offset1:13
	v_pk_add_f32 v[16:17], v[12:13], v[14:15] op_sel:[0,1] op_sel_hi:[1,0]
	v_pk_add_f32 v[12:13], v[12:13], v[14:15] op_sel:[0,1] op_sel_hi:[1,0] neg_lo:[0,1] neg_hi:[0,1]
	v_pk_add_f32 v[32:33], v[32:33], v[18:19]
	v_mov_b32_e32 v14, v16
	v_mov_b32_e32 v15, v13
	ds_write2_b64 v130, v[32:33], v[14:15] offset1:13
	v_mov_b32_e32 v13, v17
	v_lshlrev_b32_e32 v32, 6, v50
	ds_write_b64 v130, v[12:13] offset:208
	s_waitcnt lgkmcnt(0)
	s_barrier
	global_load_dwordx4 v[16:19], v32, s[4:5] offset:240
	global_load_dwordx4 v[24:27], v32, s[4:5] offset:208
	;; [unrolled: 1-line block ×4, first 2 shown]
	ds_read2_b64 v[32:35], v129 offset0:156 offset1:195
	ds_read2_b64 v[38:41], v129 offset1:39
	ds_read2_b64 v[42:45], v129 offset0:78 offset1:117
	ds_read2_b64 v[56:59], v56 offset0:106 offset1:145
	ds_read_b64 v[36:37], v129 offset:2496
	s_mov_b32 s4, 0x3f248dbb
	s_mov_b32 s5, 0x3f7c1c5c
	;; [unrolled: 1-line block ×4, first 2 shown]
	s_waitcnt vmcnt(3) lgkmcnt(4)
	v_pk_mul_f32 v[46:47], v[34:35], v[16:17] op_sel:[0,1]
	s_waitcnt vmcnt(2) lgkmcnt(3)
	v_pk_mul_f32 v[60:61], v[40:41], v[24:25] op_sel:[0,1]
	v_mov_b32_e32 v62, v27
	s_waitcnt vmcnt(1) lgkmcnt(2)
	v_pk_mul_f32 v[64:65], v[44:45], v[20:21] op_sel:[0,1]
	v_mov_b32_e32 v66, v23
	v_mov_b32_e32 v68, v19
	s_waitcnt vmcnt(0) lgkmcnt(1)
	v_pk_mul_f32 v[70:71], v[58:59], v[12:13] op_sel:[0,1]
	v_mov_b32_e32 v72, v15
	v_pk_fma_f32 v[74:75], v[34:35], v[16:17], v[46:47] op_sel:[0,0,1] op_sel_hi:[1,1,0] neg_lo:[0,0,1] neg_hi:[0,0,1]
	v_pk_fma_f32 v[34:35], v[34:35], v[16:17], v[46:47] op_sel:[0,0,1] op_sel_hi:[1,0,0]
	v_pk_fma_f32 v[46:47], v[40:41], v[24:25], v[60:61] op_sel:[0,0,1] op_sel_hi:[1,1,0] neg_lo:[0,0,1] neg_hi:[0,0,1]
	v_pk_fma_f32 v[40:41], v[40:41], v[24:25], v[60:61] op_sel:[0,0,1] op_sel_hi:[1,0,0]
	v_pk_mul_f32 v[60:61], v[42:43], v[62:63] op_sel_hi:[1,0]
	v_pk_fma_f32 v[62:63], v[44:45], v[20:21], v[64:65] op_sel:[0,0,1] op_sel_hi:[1,1,0] neg_lo:[0,0,1] neg_hi:[0,0,1]
	v_pk_fma_f32 v[44:45], v[44:45], v[20:21], v[64:65] op_sel:[0,0,1] op_sel_hi:[1,0,0]
	v_pk_mul_f32 v[64:65], v[32:33], v[66:67] op_sel_hi:[1,0]
	v_pk_mul_f32 v[66:67], v[56:57], v[68:69] op_sel_hi:[1,0]
	v_pk_fma_f32 v[68:69], v[58:59], v[12:13], v[70:71] op_sel:[0,0,1] op_sel_hi:[1,1,0] neg_lo:[0,0,1] neg_hi:[0,0,1]
	v_pk_fma_f32 v[58:59], v[58:59], v[12:13], v[70:71] op_sel:[0,0,1] op_sel_hi:[1,0,0]
	s_waitcnt lgkmcnt(0)
	v_pk_mul_f32 v[70:71], v[36:37], v[72:73] op_sel_hi:[1,0]
	v_mov_b32_e32 v75, v35
	v_pk_fma_f32 v[34:35], v[42:43], v[26:27], v[60:61] op_sel:[0,0,1] op_sel_hi:[1,1,0] neg_lo:[0,0,1] neg_hi:[0,0,1]
	v_pk_fma_f32 v[42:43], v[42:43], v[26:27], v[60:61] op_sel:[0,0,1] op_sel_hi:[1,0,0]
	v_mov_b32_e32 v63, v45
	v_pk_fma_f32 v[44:45], v[32:33], v[22:23], v[64:65] op_sel:[0,0,1] op_sel_hi:[1,1,0] neg_lo:[0,0,1] neg_hi:[0,0,1]
	v_pk_fma_f32 v[32:33], v[32:33], v[22:23], v[64:65] op_sel:[0,0,1] op_sel_hi:[1,0,0]
	v_pk_fma_f32 v[60:61], v[56:57], v[18:19], v[66:67] op_sel:[0,0,1] op_sel_hi:[1,1,0] neg_lo:[0,0,1] neg_hi:[0,0,1]
	v_pk_fma_f32 v[56:57], v[56:57], v[18:19], v[66:67] op_sel:[0,0,1] op_sel_hi:[1,0,0]
	;; [unrolled: 2-line block ×3, first 2 shown]
	v_mov_b32_e32 v47, v41
	v_mov_b32_e32 v32, v41
	;; [unrolled: 1-line block ×13, first 2 shown]
	v_pk_add_f32 v[42:43], v[46:47], v[64:65]
	v_pk_add_f32 v[40:41], v[32:33], v[40:41] neg_lo:[0,1] neg_hi:[0,1]
	v_pk_add_f32 v[64:65], v[66:67], v[36:37] neg_lo:[0,1] neg_hi:[0,1]
	;; [unrolled: 1-line block ×3, first 2 shown]
	v_mov_b32_e32 v69, v59
	v_pk_add_f32 v[58:59], v[62:63], v[60:61]
	v_pk_mul_f32 v[60:61], v[32:33], s[6:7] op_sel_hi:[1,0]
	v_pk_mul_f32 v[32:33], v[64:65], s[10:11]
	v_pk_add_f32 v[66:67], v[44:45], v[74:75] neg_lo:[0,1] neg_hi:[0,1]
	v_pk_fma_f32 v[32:33], v[40:41], s[4:5], v[32:33]
	v_pk_add_f32 v[46:47], v[34:35], v[68:69]
	v_pk_add_f32 v[32:33], v[60:61], v[32:33] op_sel:[1,0] op_sel_hi:[0,1]
	s_mov_b32 s4, 0x3f441b7d
	v_pk_mul_f32 v[34:35], v[66:67], s[14:15] op_sel_hi:[1,0]
	s_mov_b32 s10, 0x3e31d0d4
	v_pk_add_f32 v[34:35], v[34:35], v[32:33] op_sel:[1,0] op_sel_hi:[0,1]
	v_pk_fma_f32 v[32:33], v[42:43], s[4:5], v[38:39] op_sel_hi:[1,0,1]
	v_pk_add_f32 v[68:69], v[44:45], v[74:75]
	v_pk_fma_f32 v[32:33], v[46:47], s[10:11], v[32:33] op_sel_hi:[1,0,1]
	v_add_f32_e32 v76, v34, v34
	v_pk_fma_f32 v[32:33], v[58:59], 0.5, v[32:33] op_sel_hi:[1,0,1] neg_lo:[1,0,0] neg_hi:[1,0,0]
	v_mul_f32_e32 v36, 0xbf248dbb, v67
	v_pk_fma_f32 v[32:33], v[68:69], s[16:17], v[32:33] op_sel_hi:[1,0,1] neg_lo:[1,0,0] neg_hi:[1,0,0]
	v_fmac_f32_e32 v36, 0x3f7c1c5c, v40
	v_pk_add_f32 v[70:71], v[32:33], v[34:35]
	v_pk_add_f32 v[72:73], v[32:33], v[34:35] neg_lo:[0,1] neg_hi:[0,1]
	v_mul_f32_e32 v34, 0xbf248dbb, v66
	v_fmac_f32_e32 v34, 0x3f7c1c5c, v65
	v_mov_b32_e32 v62, v64
	v_mov_b32_e32 v63, v41
	v_add_f32_e32 v79, v35, v35
	v_sub_f32_e32 v35, v34, v60
	v_sub_f32_e32 v34, v36, v61
	v_pk_fma_f32 v[36:37], v[62:63], s[14:15], v[34:35] op_sel_hi:[1,0,1]
	v_pk_fma_f32 v[34:35], v[68:69], s[4:5], v[38:39] op_sel_hi:[1,0,1]
	v_add_f32_e32 v84, v36, v36
	v_pk_fma_f32 v[34:35], v[42:43], s[10:11], v[34:35] op_sel_hi:[1,0,1]
	v_add_f32_e32 v87, v37, v37
	v_pk_fma_f32 v[34:35], v[58:59], 0.5, v[34:35] op_sel_hi:[1,0,1] neg_lo:[1,0,0] neg_hi:[1,0,0]
	v_pk_add_f32 v[56:57], v[46:47], v[42:43]
	v_pk_fma_f32 v[34:35], v[46:47], s[16:17], v[34:35] op_sel_hi:[1,0,1] neg_lo:[1,0,0] neg_hi:[1,0,0]
	v_mov_b32_e32 v90, v41
	v_pk_add_f32 v[80:81], v[34:35], v[36:37]
	v_pk_add_f32 v[82:83], v[34:35], v[36:37] neg_lo:[0,1] neg_hi:[0,1]
	v_mov_b32_e32 v36, v65
	v_mov_b32_e32 v37, v40
	v_pk_add_f32 v[36:37], v[66:67], v[36:37]
	v_mov_b32_e32 v91, v64
	v_pk_add_f32 v[92:93], v[68:69], v[56:57]
	v_pk_add_f32 v[56:57], v[56:57], v[58:59]
	v_pk_add_f32 v[36:37], v[36:37], v[90:91] neg_lo:[0,1] neg_hi:[0,1]
	v_pk_add_f32 v[44:45], v[44:45], v[56:57]
	v_pk_mul_f32 v[90:91], v[36:37], s[6:7] op_sel_hi:[1,0]
	v_pk_add_f32 v[44:45], v[74:75], v[44:45]
	s_mov_b32 s6, s5
	v_pk_add_f32 v[36:37], v[58:59], v[38:39]
	v_pk_add_f32 v[56:57], v[44:45], v[38:39]
	v_pk_mul_f32 v[44:45], v[66:67], s[6:7] op_sel_hi:[1,0]
	v_pk_fma_f32 v[38:39], v[46:47], s[4:5], v[38:39] op_sel_hi:[1,0,1]
	v_pk_fma_f32 v[44:45], v[62:63], s[18:19], v[44:45] op_sel:[0,0,1] op_sel_hi:[1,0,0] neg_lo:[0,0,1] neg_hi:[0,0,1]
	v_pk_fma_f32 v[38:39], v[68:69], s[10:11], v[38:39] op_sel_hi:[1,0,1]
	v_mov_b32_e32 v41, v65
	v_pk_add_f32 v[44:45], v[60:61], v[44:45] op_sel:[1,0] op_sel_hi:[0,1]
	v_pk_fma_f32 v[38:39], v[58:59], 0.5, v[38:39] op_sel_hi:[1,0,1] neg_lo:[1,0,0] neg_hi:[1,0,0]
	v_pk_fma_f32 v[36:37], v[92:93], 0.5, v[36:37] op_sel_hi:[1,0,1] neg_lo:[1,0,0] neg_hi:[1,0,0]
	v_pk_fma_f32 v[40:41], v[40:41], s[14:15], v[44:45] op_sel_hi:[1,0,1]
	v_pk_fma_f32 v[38:39], v[42:43], s[16:17], v[38:39] op_sel_hi:[1,0,1] neg_lo:[1,0,0] neg_hi:[1,0,0]
	v_mov_b32_e32 v78, v70
	v_mov_b32_e32 v77, v73
	v_pk_add_f32 v[92:93], v[36:37], v[90:91] op_sel:[0,1] op_sel_hi:[1,0]
	v_pk_add_f32 v[94:95], v[36:37], v[90:91] op_sel:[0,1] op_sel_hi:[1,0] neg_lo:[0,1] neg_hi:[0,1]
	v_pk_add_f32 v[44:45], v[38:39], v[40:41]
	v_pk_add_f32 v[58:59], v[38:39], v[40:41] neg_lo:[0,1] neg_hi:[0,1]
	v_add_f32_e32 v60, v40, v40
	v_add_f32_e32 v63, v41, v41
	v_pk_add_f32 v[42:43], v[70:71], v[76:77] neg_lo:[0,1] neg_hi:[0,1]
	v_pk_add_f32 v[40:41], v[78:79], v[72:73]
	v_mov_b32_e32 v86, v80
	v_mov_b32_e32 v85, v83
	v_add_f32_e32 v64, v91, v91
	v_add_f32_e32 v91, v90, v90
	v_mov_b32_e32 v43, v41
	v_pk_add_f32 v[40:41], v[80:81], v[84:85] neg_lo:[0,1] neg_hi:[0,1]
	v_pk_add_f32 v[46:47], v[86:87], v[82:83]
	v_mov_b32_e32 v90, v92
	v_mov_b32_e32 v65, v95
	v_mov_b32_e32 v62, v44
	v_mov_b32_e32 v61, v59
	v_mov_b32_e32 v38, v44
	v_mov_b32_e32 v39, v59
	v_mov_b32_e32 v41, v47
	v_pk_add_f32 v[46:47], v[92:93], v[64:65] neg_lo:[0,1] neg_hi:[0,1]
	v_pk_add_f32 v[64:65], v[90:91], v[94:95]
	v_pk_add_f32 v[44:45], v[44:45], v[60:61] neg_lo:[0,1] neg_hi:[0,1]
	v_pk_add_f32 v[58:59], v[62:63], v[58:59]
	v_mov_b32_e32 v32, v70
	v_mov_b32_e32 v33, v73
	;; [unrolled: 1-line block ×8, first 2 shown]
	v_add_u32_e32 v58, 0x800, v128
	ds_write_b64 v133, v[56:57]
	ds_write2_b64 v128, v[32:33], v[34:35] offset0:39 offset1:78
	ds_write2_b64 v128, v[36:37], v[38:39] offset0:117 offset1:156
	;; [unrolled: 1-line block ×4, first 2 shown]
	s_waitcnt lgkmcnt(0)
	s_barrier
	s_and_saveexec_b64 s[4:5], vcc
	s_cbranch_execz .LBB0_9
; %bb.8:
	global_load_dwordx2 v[60:61], v49, s[8:9] offset:2808
	s_add_u32 s6, s8, 0xaf8
	s_addc_u32 s7, s9, 0
	global_load_dwordx2 v[84:85], v49, s[6:7] offset:216
	global_load_dwordx2 v[86:87], v49, s[6:7] offset:432
	;; [unrolled: 1-line block ×12, first 2 shown]
	ds_read_b64 v[62:63], v133
	v_add_u32_e32 v59, 0x400, v128
	s_waitcnt vmcnt(12) lgkmcnt(0)
	v_mul_f32_e32 v64, v63, v61
	v_mul_f32_e32 v65, v62, v61
	v_fma_f32 v64, v62, v60, -v64
	v_fmac_f32_e32 v65, v63, v60
	ds_write_b64 v133, v[64:65]
	ds_read2_b64 v[60:63], v128 offset0:27 offset1:54
	ds_read2_b64 v[64:67], v128 offset0:81 offset1:108
	;; [unrolled: 1-line block ×6, first 2 shown]
	s_waitcnt vmcnt(11) lgkmcnt(5)
	v_mul_f32_e32 v89, v61, v85
	v_mul_f32_e32 v111, v60, v85
	s_waitcnt vmcnt(10)
	v_mul_f32_e32 v112, v63, v87
	v_mul_f32_e32 v85, v62, v87
	s_waitcnt vmcnt(9) lgkmcnt(4)
	v_mul_f32_e32 v113, v65, v91
	v_mul_f32_e32 v87, v64, v91
	s_waitcnt vmcnt(8)
	v_mul_f32_e32 v114, v67, v93
	v_mul_f32_e32 v91, v66, v93
	;; [unrolled: 6-line block ×6, first 2 shown]
	v_fma_f32 v110, v60, v84, -v89
	v_fmac_f32_e32 v111, v61, v84
	v_fma_f32 v84, v62, v86, -v112
	v_fmac_f32_e32 v85, v63, v86
	;; [unrolled: 2-line block ×12, first 2 shown]
	ds_write2_b64 v128, v[110:111], v[84:85] offset0:27 offset1:54
	ds_write2_b64 v128, v[86:87], v[90:91] offset0:81 offset1:108
	;; [unrolled: 1-line block ×6, first 2 shown]
.LBB0_9:
	s_or_b64 exec, exec, s[4:5]
	s_waitcnt lgkmcnt(0)
	s_barrier
	s_and_saveexec_b64 s[4:5], vcc
	s_cbranch_execz .LBB0_11
; %bb.10:
	ds_read_b64 v[56:57], v133
	ds_read2_b64 v[32:35], v133 offset0:27 offset1:54
	ds_read2_b64 v[36:39], v133 offset0:81 offset1:108
	v_add_u32_e32 v40, 0x400, v133
	v_add_u32_e32 v28, 0x800, v133
	ds_read2_b64 v[28:31], v28 offset0:41 offset1:68
	ds_read2_b64 v[58:61], v40 offset0:115 offset1:142
	;; [unrolled: 1-line block ×4, first 2 shown]
	s_waitcnt lgkmcnt(2)
	v_mov_b64_e32 v[52:53], v[60:61]
	v_mov_b64_e32 v[54:55], v[58:59]
.LBB0_11:
	s_or_b64 exec, exec, s[4:5]
	v_mov_b32_e32 v84, v8
	v_mov_b32_e32 v85, v8
	;; [unrolled: 1-line block ×42, first 2 shown]
	s_waitcnt lgkmcnt(0)
	s_barrier
	s_and_saveexec_b64 s[4:5], vcc
	s_cbranch_execz .LBB0_13
; %bb.12:
	v_pk_add_f32 v[86:87], v[32:33], v[56:57]
	v_pk_add_f32 v[136:137], v[32:33], v[30:31] neg_lo:[0,1] neg_hi:[0,1]
	v_pk_add_f32 v[86:87], v[34:35], v[86:87]
	s_mov_b32 s6, 0xbeedf032
	v_pk_add_f32 v[86:87], v[36:37], v[86:87]
	v_pk_add_f32 v[134:135], v[30:31], v[32:33]
	;; [unrolled: 1-line block ×3, first 2 shown]
	s_mov_b32 s14, 0x3f62ad3f
	v_pk_add_f32 v[86:87], v[44:45], v[86:87]
	v_pk_add_f32 v[126:127], v[28:29], v[34:35]
	;; [unrolled: 1-line block ×3, first 2 shown]
	v_pk_add_f32 v[138:139], v[34:35], v[28:29] neg_lo:[0,1] neg_hi:[0,1]
	v_pk_add_f32 v[86:87], v[40:41], v[86:87]
	s_mov_b32 s10, 0x3f116cb1
	v_pk_add_f32 v[86:87], v[42:43], v[86:87]
	v_pk_mul_f32 v[34:35], v[138:139], s[24:25] op_sel_hi:[1,0]
	v_pk_add_f32 v[86:87], v[54:55], v[86:87]
	v_pk_add_f32 v[122:123], v[52:53], v[36:37]
	;; [unrolled: 1-line block ×3, first 2 shown]
	v_pk_add_f32 v[124:125], v[36:37], v[52:53] neg_lo:[0,1] neg_hi:[0,1]
	v_pk_add_f32 v[86:87], v[28:29], v[86:87]
	v_pk_add_f32 v[118:119], v[54:55], v[38:39]
	;; [unrolled: 1-line block ×3, first 2 shown]
	v_pk_mul_f32 v[30:31], v[136:137], s[6:7] op_sel_hi:[1,0]
	v_pk_add_f32 v[120:121], v[38:39], v[54:55] neg_lo:[0,1] neg_hi:[0,1]
	v_pk_fma_f32 v[28:29], v[134:135], s[14:15], v[30:31] op_sel:[0,0,1] op_sel_hi:[1,0,0]
	v_pk_fma_f32 v[30:31], v[134:135], s[14:15], v[30:31] op_sel:[0,0,1] op_sel_hi:[1,0,0] neg_lo:[0,0,1] neg_hi:[0,0,1]
	v_mov_b32_e32 v32, v28
	v_mov_b32_e32 v33, v31
	v_pk_add_f32 v[36:37], v[56:57], v[32:33]
	v_pk_fma_f32 v[32:33], v[126:127], s[10:11], v[34:35] op_sel:[0,0,1] op_sel_hi:[1,0,0]
	v_pk_fma_f32 v[34:35], v[126:127], s[10:11], v[34:35] op_sel:[0,0,1] op_sel_hi:[1,0,0] neg_lo:[0,0,1] neg_hi:[0,0,1]
	v_mov_b32_e32 v38, v32
	v_mov_b32_e32 v39, v35
	s_mov_b32 s34, 0xbf7e222b
	v_pk_add_f32 v[110:111], v[40:41], v[46:47]
	v_pk_add_f32 v[112:113], v[46:47], v[40:41] neg_lo:[0,1] neg_hi:[0,1]
	v_pk_add_f32 v[40:41], v[38:39], v[36:37]
	s_mov_b32 s6, 0x3df6dbef
	v_pk_mul_f32 v[38:39], v[124:125], s[34:35] op_sel_hi:[1,0]
	v_pk_add_f32 v[114:115], v[42:43], v[44:45]
	v_pk_fma_f32 v[36:37], v[122:123], s[6:7], v[38:39] op_sel:[0,0,1] op_sel_hi:[1,0,0]
	v_pk_fma_f32 v[38:39], v[122:123], s[6:7], v[38:39] op_sel:[0,0,1] op_sel_hi:[1,0,0] neg_lo:[0,0,1] neg_hi:[0,0,1]
	v_pk_add_f32 v[116:117], v[44:45], v[42:43] neg_lo:[0,1] neg_hi:[0,1]
	v_mov_b32_e32 v42, v36
	v_mov_b32_e32 v43, v39
	s_mov_b32 s18, 0xbf6f5d39
	v_pk_add_f32 v[44:45], v[42:43], v[40:41]
	s_mov_b32 s16, 0xbeb58ec6
	v_pk_mul_f32 v[42:43], v[120:121], s[18:19] op_sel_hi:[1,0]
	s_mov_b32 s22, 0xbf29c268
	v_pk_fma_f32 v[40:41], v[118:119], s[16:17], v[42:43] op_sel:[0,0,1] op_sel_hi:[1,0,0]
	v_pk_fma_f32 v[42:43], v[118:119], s[16:17], v[42:43] op_sel:[0,0,1] op_sel_hi:[1,0,0] neg_lo:[0,0,1] neg_hi:[0,0,1]
	v_mov_b32_e32 v46, v40
	v_mov_b32_e32 v47, v43
	v_pk_add_f32 v[52:53], v[46:47], v[44:45]
	v_pk_mul_f32 v[46:47], v[116:117], s[22:23] op_sel_hi:[1,0]
	s_mov_b32 s28, 0xbe750f2a
	v_pk_fma_f32 v[44:45], v[114:115], s[20:21], v[46:47] op_sel:[0,0,1] op_sel_hi:[1,0,0]
	v_pk_fma_f32 v[46:47], v[114:115], s[20:21], v[46:47] op_sel:[0,0,1] op_sel_hi:[1,0,0] neg_lo:[0,0,1] neg_hi:[0,0,1]
	v_mov_b32_e32 v54, v44
	v_mov_b32_e32 v55, v47
	v_lshl_add_u32 v51, v88, 3, v51
	v_pk_add_f32 v[88:89], v[54:55], v[52:53]
	s_mov_b32 s26, 0xbf788fa5
	v_pk_mul_f32 v[54:55], v[112:113], s[28:29] op_sel_hi:[1,0]
	v_pk_mul_f32 v[92:93], v[138:139], s[18:19] op_sel_hi:[1,0]
	v_pk_fma_f32 v[52:53], v[110:111], s[26:27], v[54:55] op_sel:[0,0,1] op_sel_hi:[1,0,0]
	v_pk_fma_f32 v[54:55], v[110:111], s[26:27], v[54:55] op_sel:[0,0,1] op_sel_hi:[1,0,0] neg_lo:[0,0,1] neg_hi:[0,0,1]
	v_mov_b32_e32 v90, v52
	v_mov_b32_e32 v91, v55
	v_pk_add_f32 v[88:89], v[90:91], v[88:89]
	ds_write2_b64 v51, v[86:87], v[88:89] offset1:1
	v_pk_mul_f32 v[88:89], v[136:137], s[24:25] op_sel_hi:[1,0]
	s_mov_b32 s38, 0x3f29c268
	v_pk_fma_f32 v[86:87], v[134:135], s[10:11], v[88:89] op_sel:[0,0,1] op_sel_hi:[1,0,0]
	v_pk_fma_f32 v[88:89], v[134:135], s[10:11], v[88:89] op_sel:[0,0,1] op_sel_hi:[1,0,0] neg_lo:[0,0,1] neg_hi:[0,0,1]
	v_mov_b32_e32 v90, v86
	v_mov_b32_e32 v91, v89
	v_pk_add_f32 v[94:95], v[56:57], v[90:91]
	v_pk_fma_f32 v[90:91], v[126:127], s[16:17], v[92:93] op_sel:[0,0,1] op_sel_hi:[1,0,0]
	v_pk_fma_f32 v[92:93], v[126:127], s[16:17], v[92:93] op_sel:[0,0,1] op_sel_hi:[1,0,0] neg_lo:[0,0,1] neg_hi:[0,0,1]
	v_mov_b32_e32 v96, v90
	v_mov_b32_e32 v97, v93
	v_pk_add_f32 v[98:99], v[96:97], v[94:95]
	v_pk_mul_f32 v[96:97], v[124:125], s[28:29] op_sel_hi:[1,0]
	s_mov_b32 s36, 0x3eedf032
	v_pk_fma_f32 v[94:95], v[122:123], s[26:27], v[96:97] op_sel:[0,0,1] op_sel_hi:[1,0,0]
	v_pk_fma_f32 v[96:97], v[122:123], s[26:27], v[96:97] op_sel:[0,0,1] op_sel_hi:[1,0,0] neg_lo:[0,0,1] neg_hi:[0,0,1]
	v_mov_b32_e32 v100, v94
	v_mov_b32_e32 v101, v97
	v_pk_add_f32 v[102:103], v[100:101], v[98:99]
	v_pk_mul_f32 v[100:101], v[120:121], s[38:39] op_sel_hi:[1,0]
	v_pk_mul_f32 v[148:149], v[138:139], s[28:29] op_sel_hi:[1,0]
	v_pk_fma_f32 v[98:99], v[118:119], s[20:21], v[100:101] op_sel:[0,0,1] op_sel_hi:[1,0,0]
	v_pk_fma_f32 v[100:101], v[118:119], s[20:21], v[100:101] op_sel:[0,0,1] op_sel_hi:[1,0,0] neg_lo:[0,0,1] neg_hi:[0,0,1]
	v_mov_b32_e32 v104, v98
	v_mov_b32_e32 v105, v101
	v_pk_add_f32 v[106:107], v[104:105], v[102:103]
	v_pk_mul_f32 v[104:105], v[116:117], s[30:31] op_sel_hi:[1,0]
	v_pk_fma_f32 v[150:151], v[126:127], s[26:27], v[148:149] op_sel:[0,0,1] op_sel_hi:[1,0,0]
	v_pk_fma_f32 v[102:103], v[114:115], s[6:7], v[104:105] op_sel:[0,0,1] op_sel_hi:[1,0,0]
	v_pk_fma_f32 v[104:105], v[114:115], s[6:7], v[104:105] op_sel:[0,0,1] op_sel_hi:[1,0,0] neg_lo:[0,0,1] neg_hi:[0,0,1]
	v_mov_b32_e32 v108, v102
	v_mov_b32_e32 v109, v105
	v_pk_add_f32 v[140:141], v[108:109], v[106:107]
	v_pk_mul_f32 v[108:109], v[112:113], s[36:37] op_sel_hi:[1,0]
	v_pk_fma_f32 v[148:149], v[126:127], s[26:27], v[148:149] op_sel:[0,0,1] op_sel_hi:[1,0,0] neg_lo:[0,0,1] neg_hi:[0,0,1]
	v_pk_fma_f32 v[106:107], v[110:111], s[14:15], v[108:109] op_sel:[0,0,1] op_sel_hi:[1,0,0]
	v_pk_fma_f32 v[108:109], v[110:111], s[14:15], v[108:109] op_sel:[0,0,1] op_sel_hi:[1,0,0] neg_lo:[0,0,1] neg_hi:[0,0,1]
	v_mov_b32_e32 v142, v106
	v_mov_b32_e32 v143, v109
	v_pk_add_f32 v[140:141], v[142:143], v[140:141]
	v_pk_mul_f32 v[142:143], v[136:137], s[34:35] op_sel_hi:[1,0]
	v_mov_b32_e32 v152, v150
	v_pk_fma_f32 v[144:145], v[134:135], s[6:7], v[142:143] op_sel:[0,0,1] op_sel_hi:[1,0,0]
	v_pk_fma_f32 v[142:143], v[134:135], s[6:7], v[142:143] op_sel:[0,0,1] op_sel_hi:[1,0,0] neg_lo:[0,0,1] neg_hi:[0,0,1]
	v_mov_b32_e32 v146, v144
	v_mov_b32_e32 v147, v143
	v_pk_add_f32 v[146:147], v[56:57], v[146:147]
	v_mov_b32_e32 v153, v149
	s_mov_b32 s40, 0x3f6f5d39
	v_pk_add_f32 v[146:147], v[152:153], v[146:147]
	v_pk_mul_f32 v[152:153], v[124:125], s[40:41] op_sel_hi:[1,0]
	v_pk_mul_f32 v[170:171], v[138:139], s[38:39] op_sel_hi:[1,0]
	v_pk_fma_f32 v[154:155], v[122:123], s[16:17], v[152:153] op_sel:[0,0,1] op_sel_hi:[1,0,0]
	v_pk_fma_f32 v[152:153], v[122:123], s[16:17], v[152:153] op_sel:[0,0,1] op_sel_hi:[1,0,0] neg_lo:[0,0,1] neg_hi:[0,0,1]
	v_mov_b32_e32 v156, v154
	v_mov_b32_e32 v157, v153
	v_pk_add_f32 v[146:147], v[156:157], v[146:147]
	v_pk_mul_f32 v[156:157], v[120:121], s[36:37] op_sel_hi:[1,0]
	v_pk_fma_f32 v[172:173], v[126:127], s[20:21], v[170:171] op_sel:[0,0,1] op_sel_hi:[1,0,0]
	v_pk_fma_f32 v[158:159], v[118:119], s[14:15], v[156:157] op_sel:[0,0,1] op_sel_hi:[1,0,0]
	v_pk_fma_f32 v[156:157], v[118:119], s[14:15], v[156:157] op_sel:[0,0,1] op_sel_hi:[1,0,0] neg_lo:[0,0,1] neg_hi:[0,0,1]
	v_mov_b32_e32 v160, v158
	v_mov_b32_e32 v161, v157
	v_pk_add_f32 v[146:147], v[160:161], v[146:147]
	v_pk_mul_f32 v[160:161], v[116:117], s[24:25] op_sel_hi:[1,0]
	v_pk_fma_f32 v[170:171], v[126:127], s[20:21], v[170:171] op_sel:[0,0,1] op_sel_hi:[1,0,0] neg_lo:[0,0,1] neg_hi:[0,0,1]
	v_pk_fma_f32 v[162:163], v[114:115], s[10:11], v[160:161] op_sel:[0,0,1] op_sel_hi:[1,0,0]
	v_pk_fma_f32 v[160:161], v[114:115], s[10:11], v[160:161] op_sel:[0,0,1] op_sel_hi:[1,0,0] neg_lo:[0,0,1] neg_hi:[0,0,1]
	v_mov_b32_e32 v164, v162
	v_mov_b32_e32 v165, v161
	v_pk_add_f32 v[146:147], v[164:165], v[146:147]
	v_pk_mul_f32 v[164:165], v[112:113], s[22:23] op_sel_hi:[1,0]
	v_mov_b32_e32 v174, v172
	v_pk_fma_f32 v[166:167], v[110:111], s[20:21], v[164:165] op_sel:[0,0,1] op_sel_hi:[1,0,0]
	v_pk_fma_f32 v[164:165], v[110:111], s[20:21], v[164:165] op_sel:[0,0,1] op_sel_hi:[1,0,0] neg_lo:[0,0,1] neg_hi:[0,0,1]
	v_mov_b32_e32 v168, v166
	v_mov_b32_e32 v169, v165
	v_pk_add_f32 v[146:147], v[168:169], v[146:147]
	ds_write2_b64 v51, v[140:141], v[146:147] offset0:2 offset1:3
	v_pk_mul_f32 v[140:141], v[136:137], s[18:19] op_sel_hi:[1,0]
	v_mov_b32_e32 v175, v171
	v_pk_fma_f32 v[146:147], v[134:135], s[16:17], v[140:141] op_sel:[0,0,1] op_sel_hi:[1,0,0]
	v_pk_fma_f32 v[140:141], v[134:135], s[16:17], v[140:141] op_sel:[0,0,1] op_sel_hi:[1,0,0] neg_lo:[0,0,1] neg_hi:[0,0,1]
	v_mov_b32_e32 v168, v146
	v_mov_b32_e32 v169, v141
	v_pk_add_f32 v[168:169], v[56:57], v[168:169]
	s_mov_b32 s38, 0x3f52af12
	v_pk_add_f32 v[168:169], v[174:175], v[168:169]
	v_pk_mul_f32 v[174:175], v[124:125], s[36:37] op_sel_hi:[1,0]
	v_pk_mul_f32 v[196:197], v[138:139], s[30:31] op_sel_hi:[1,0]
	v_pk_fma_f32 v[176:177], v[122:123], s[14:15], v[174:175] op_sel:[0,0,1] op_sel_hi:[1,0,0]
	v_pk_fma_f32 v[174:175], v[122:123], s[14:15], v[174:175] op_sel:[0,0,1] op_sel_hi:[1,0,0] neg_lo:[0,0,1] neg_hi:[0,0,1]
	v_mov_b32_e32 v178, v176
	v_mov_b32_e32 v179, v175
	v_pk_add_f32 v[168:169], v[178:179], v[168:169]
	v_pk_mul_f32 v[178:179], v[120:121], s[34:35] op_sel_hi:[1,0]
	s_mov_b32 s34, 0x3e750f2a
	v_pk_fma_f32 v[180:181], v[118:119], s[6:7], v[178:179] op_sel:[0,0,1] op_sel_hi:[1,0,0]
	v_pk_fma_f32 v[178:179], v[118:119], s[6:7], v[178:179] op_sel:[0,0,1] op_sel_hi:[1,0,0] neg_lo:[0,0,1] neg_hi:[0,0,1]
	v_mov_b32_e32 v182, v180
	v_mov_b32_e32 v183, v179
	v_pk_add_f32 v[168:169], v[182:183], v[168:169]
	v_pk_mul_f32 v[182:183], v[116:117], s[34:35] op_sel_hi:[1,0]
	v_pk_fma_f32 v[198:199], v[126:127], s[6:7], v[196:197] op_sel:[0,0,1] op_sel_hi:[1,0,0]
	v_pk_fma_f32 v[184:185], v[114:115], s[26:27], v[182:183] op_sel:[0,0,1] op_sel_hi:[1,0,0]
	v_pk_fma_f32 v[182:183], v[114:115], s[26:27], v[182:183] op_sel:[0,0,1] op_sel_hi:[1,0,0] neg_lo:[0,0,1] neg_hi:[0,0,1]
	v_mov_b32_e32 v186, v184
	v_mov_b32_e32 v187, v183
	v_pk_add_f32 v[168:169], v[186:187], v[168:169]
	v_pk_mul_f32 v[186:187], v[112:113], s[38:39] op_sel_hi:[1,0]
	v_pk_fma_f32 v[196:197], v[126:127], s[6:7], v[196:197] op_sel:[0,0,1] op_sel_hi:[1,0,0] neg_lo:[0,0,1] neg_hi:[0,0,1]
	v_pk_fma_f32 v[188:189], v[110:111], s[10:11], v[186:187] op_sel:[0,0,1] op_sel_hi:[1,0,0]
	v_pk_fma_f32 v[186:187], v[110:111], s[10:11], v[186:187] op_sel:[0,0,1] op_sel_hi:[1,0,0] neg_lo:[0,0,1] neg_hi:[0,0,1]
	v_mov_b32_e32 v190, v188
	v_mov_b32_e32 v191, v187
	v_pk_add_f32 v[168:169], v[190:191], v[168:169]
	v_pk_mul_f32 v[190:191], v[136:137], s[22:23] op_sel_hi:[1,0]
	v_mov_b32_e32 v200, v198
	v_pk_fma_f32 v[192:193], v[134:135], s[20:21], v[190:191] op_sel:[0,0,1] op_sel_hi:[1,0,0]
	v_pk_fma_f32 v[190:191], v[134:135], s[20:21], v[190:191] op_sel:[0,0,1] op_sel_hi:[1,0,0] neg_lo:[0,0,1] neg_hi:[0,0,1]
	v_mov_b32_e32 v194, v192
	v_mov_b32_e32 v195, v191
	v_pk_add_f32 v[194:195], v[56:57], v[194:195]
	v_mov_b32_e32 v201, v197
	v_pk_add_f32 v[194:195], v[200:201], v[194:195]
	v_pk_mul_f32 v[200:201], v[124:125], s[24:25] op_sel_hi:[1,0]
	v_pk_mul_f32 v[136:137], v[136:137], s[28:29] op_sel_hi:[1,0]
	v_pk_fma_f32 v[202:203], v[122:123], s[10:11], v[200:201] op_sel:[0,0,1] op_sel_hi:[1,0,0]
	v_pk_fma_f32 v[200:201], v[122:123], s[10:11], v[200:201] op_sel:[0,0,1] op_sel_hi:[1,0,0] neg_lo:[0,0,1] neg_hi:[0,0,1]
	v_mov_b32_e32 v204, v202
	v_mov_b32_e32 v205, v201
	v_pk_add_f32 v[194:195], v[204:205], v[194:195]
	v_pk_mul_f32 v[204:205], v[120:121], s[34:35] op_sel_hi:[1,0]
	v_pk_mul_f32 v[124:125], v[124:125], s[22:23] op_sel_hi:[1,0]
	v_pk_fma_f32 v[206:207], v[118:119], s[26:27], v[204:205] op_sel:[0,0,1] op_sel_hi:[1,0,0]
	v_pk_fma_f32 v[204:205], v[118:119], s[26:27], v[204:205] op_sel:[0,0,1] op_sel_hi:[1,0,0] neg_lo:[0,0,1] neg_hi:[0,0,1]
	v_mov_b32_e32 v208, v206
	;; [unrolled: 7-line block ×4, first 2 shown]
	v_mov_b32_e32 v217, v213
	v_pk_add_f32 v[194:195], v[216:217], v[194:195]
	ds_write2_b64 v51, v[168:169], v[194:195] offset0:4 offset1:5
	v_pk_fma_f32 v[168:169], v[134:135], s[26:27], v[136:137] op_sel:[0,0,1] op_sel_hi:[1,0,0]
	v_pk_fma_f32 v[134:135], v[134:135], s[26:27], v[136:137] op_sel:[0,0,1] op_sel_hi:[1,0,0] neg_lo:[0,0,1] neg_hi:[0,0,1]
	v_pk_mul_f32 v[136:137], v[138:139], s[36:37] op_sel_hi:[1,0]
	v_pk_mul_f32 v[112:113], v[112:113], s[30:31] op_sel_hi:[1,0]
	v_pk_fma_f32 v[138:139], v[126:127], s[14:15], v[136:137] op_sel:[0,0,1] op_sel_hi:[1,0,0]
	v_pk_fma_f32 v[126:127], v[126:127], s[14:15], v[136:137] op_sel:[0,0,1] op_sel_hi:[1,0,0] neg_lo:[0,0,1] neg_hi:[0,0,1]
	v_mov_b32_e32 v136, v168
	v_mov_b32_e32 v137, v135
	v_pk_add_f32 v[136:137], v[56:57], v[136:137]
	v_mov_b32_e32 v194, v138
	v_mov_b32_e32 v195, v127
	v_pk_add_f32 v[136:137], v[194:195], v[136:137]
	v_pk_fma_f32 v[194:195], v[122:123], s[20:21], v[124:125] op_sel:[0,0,1] op_sel_hi:[1,0,0]
	v_pk_fma_f32 v[122:123], v[122:123], s[20:21], v[124:125] op_sel:[0,0,1] op_sel_hi:[1,0,0] neg_lo:[0,0,1] neg_hi:[0,0,1]
	v_mov_b32_e32 v124, v194
	v_mov_b32_e32 v125, v123
	v_pk_add_f32 v[124:125], v[124:125], v[136:137]
	v_pk_fma_f32 v[136:137], v[118:119], s[10:11], v[120:121] op_sel:[0,0,1] op_sel_hi:[1,0,0]
	v_pk_fma_f32 v[118:119], v[118:119], s[10:11], v[120:121] op_sel:[0,0,1] op_sel_hi:[1,0,0] neg_lo:[0,0,1] neg_hi:[0,0,1]
	;; [unrolled: 5-line block ×4, first 2 shown]
	v_mov_b32_e32 v112, v120
	v_mov_b32_e32 v113, v111
	v_mov_b32_e32 v135, v169
	v_pk_add_f32 v[112:113], v[112:113], v[116:117]
	v_mov_b32_e32 v127, v139
	v_pk_add_f32 v[116:117], v[56:57], v[134:135]
	v_mov_b32_e32 v123, v195
	;; [unrolled: 2-line block ×7, first 2 shown]
	ds_write2_b64 v51, v[112:113], v[110:111] offset0:6 offset1:7
	v_mov_b32_e32 v197, v199
	v_pk_add_f32 v[110:111], v[56:57], v[190:191]
	v_pk_add_f32 v[112:113], v[56:57], v[140:141]
	v_mov_b32_e32 v171, v173
	v_pk_add_f32 v[110:111], v[196:197], v[110:111]
	v_mov_b32_e32 v201, v203
	;; [unrolled: 2-line block ×9, first 2 shown]
	v_pk_add_f32 v[110:111], v[212:213], v[110:111]
	v_pk_add_f32 v[112:113], v[186:187], v[112:113]
	v_mov_b32_e32 v143, v145
	v_mov_b32_e32 v89, v87
	;; [unrolled: 1-line block ×3, first 2 shown]
	ds_write2_b64 v51, v[110:111], v[112:113] offset0:8 offset1:9
	v_pk_add_f32 v[110:111], v[56:57], v[142:143]
	v_mov_b32_e32 v149, v151
	v_pk_add_f32 v[86:87], v[56:57], v[88:89]
	v_mov_b32_e32 v93, v91
	;; [unrolled: 2-line block ×15, first 2 shown]
	v_pk_add_f32 v[110:111], v[164:165], v[110:111]
	v_pk_add_f32 v[86:87], v[108:109], v[86:87]
	v_pk_add_f32 v[28:29], v[54:55], v[28:29]
	ds_write2_b64 v51, v[110:111], v[86:87] offset0:10 offset1:11
	ds_write_b64 v51, v[28:29] offset:96
.LBB0_13:
	s_or_b64 exec, exec, s[4:5]
	s_waitcnt lgkmcnt(0)
	s_barrier
	ds_read2_b64 v[28:31], v129 offset0:156 offset1:195
	ds_read2_b64 v[32:35], v129 offset0:78 offset1:117
	ds_read_b64 v[36:37], v129 offset:2496
	v_add_u32_e32 v46, 0x400, v129
	s_mov_b32 s4, 0x3f5db3d7
	s_waitcnt lgkmcnt(2)
	v_pk_mul_f32 v[8:9], v[8:9], v[30:31]
	v_pk_mul_f32 v[4:5], v[4:5], v[28:29]
	v_pk_fma_f32 v[40:41], v[84:85], v[30:31], v[8:9] op_sel:[0,0,1] op_sel_hi:[1,1,0]
	v_pk_fma_f32 v[8:9], v[84:85], v[30:31], v[8:9] op_sel:[0,0,1] op_sel_hi:[1,1,0] neg_lo:[0,0,1] neg_hi:[0,0,1]
	s_waitcnt lgkmcnt(1)
	v_pk_mul_f32 v[0:1], v[0:1], v[34:35]
	v_mov_b32_e32 v41, v9
	s_waitcnt lgkmcnt(0)
	v_pk_mul_f32 v[8:9], v[10:11], v[36:37]
	v_pk_fma_f32 v[44:45], v[80:81], v[28:29], v[4:5] op_sel:[0,0,1] op_sel_hi:[1,1,0]
	v_pk_fma_f32 v[30:31], v[82:83], v[36:37], v[8:9] op_sel:[0,0,1] op_sel_hi:[1,1,0]
	v_pk_fma_f32 v[8:9], v[82:83], v[36:37], v[8:9] op_sel:[0,0,1] op_sel_hi:[1,1,0] neg_lo:[0,0,1] neg_hi:[0,0,1]
	ds_read2_b64 v[36:39], v46 offset0:106 offset1:145
	v_mov_b32_e32 v31, v9
	v_pk_add_f32 v[8:9], v[32:33], v[40:41]
	v_pk_fma_f32 v[4:5], v[80:81], v[28:29], v[4:5] op_sel:[0,0,1] op_sel_hi:[1,1,0] neg_lo:[0,0,1] neg_hi:[0,0,1]
	v_pk_add_f32 v[42:43], v[8:9], v[30:31]
	ds_read2_b64 v[8:11], v129 offset1:39
	v_pk_fma_f32 v[28:29], v[76:77], v[34:35], v[0:1] op_sel:[0,0,1] op_sel_hi:[1,1,0]
	v_pk_fma_f32 v[0:1], v[76:77], v[34:35], v[0:1] op_sel:[0,0,1] op_sel_hi:[1,1,0] neg_lo:[0,0,1] neg_hi:[0,0,1]
	v_mov_b32_e32 v45, v5
	v_mov_b32_e32 v29, v1
	s_waitcnt lgkmcnt(1)
	v_pk_mul_f32 v[0:1], v[2:3], v[36:37]
	v_pk_mul_f32 v[4:5], v[6:7], v[38:39]
	v_pk_fma_f32 v[2:3], v[74:75], v[36:37], v[0:1] op_sel:[0,0,1] op_sel_hi:[1,1,0]
	v_pk_fma_f32 v[0:1], v[74:75], v[36:37], v[0:1] op_sel:[0,0,1] op_sel_hi:[1,1,0] neg_lo:[0,0,1] neg_hi:[0,0,1]
	v_pk_fma_f32 v[6:7], v[78:79], v[38:39], v[4:5] op_sel:[0,0,1] op_sel_hi:[1,1,0]
	v_mov_b32_e32 v3, v1
	s_waitcnt lgkmcnt(0)
	v_pk_add_f32 v[0:1], v[8:9], v[28:29]
	v_pk_add_f32 v[34:35], v[28:29], v[2:3]
	;; [unrolled: 1-line block ×3, first 2 shown]
	v_pk_add_f32 v[2:3], v[28:29], v[2:3] neg_lo:[0,1] neg_hi:[0,1]
	v_pk_fma_f32 v[8:9], v[34:35], 0.5, v[8:9] op_sel_hi:[1,0,1] neg_lo:[1,0,0] neg_hi:[1,0,0]
	v_pk_mul_f32 v[2:3], v[2:3], s[4:5] op_sel_hi:[1,0]
	v_pk_fma_f32 v[4:5], v[78:79], v[38:39], v[4:5] op_sel:[0,0,1] op_sel_hi:[1,1,0] neg_lo:[0,0,1] neg_hi:[0,0,1]
	v_pk_add_f32 v[28:29], v[8:9], v[2:3] op_sel:[0,1] op_sel_hi:[1,0] neg_lo:[0,1] neg_hi:[0,1]
	v_pk_add_f32 v[2:3], v[8:9], v[2:3] op_sel:[0,1] op_sel_hi:[1,0]
	v_mov_b32_e32 v7, v5
	v_mov_b32_e32 v8, v28
	;; [unrolled: 1-line block ×4, first 2 shown]
	s_barrier
	ds_write2_b64 v132, v[0:1], v[8:9] offset1:13
	ds_write_b64 v132, v[2:3] offset:208
	v_pk_add_f32 v[0:1], v[44:45], v[6:7]
	v_pk_add_f32 v[2:3], v[44:45], v[6:7] neg_lo:[0,1] neg_hi:[0,1]
	v_pk_add_f32 v[4:5], v[10:11], v[44:45]
	v_pk_fma_f32 v[0:1], v[0:1], 0.5, v[10:11] op_sel_hi:[1,0,1] neg_lo:[1,0,0] neg_hi:[1,0,0]
	v_pk_mul_f32 v[2:3], v[2:3], s[4:5] op_sel_hi:[1,0]
	v_pk_add_f32 v[4:5], v[4:5], v[6:7]
	v_pk_add_f32 v[6:7], v[0:1], v[2:3] op_sel:[0,1] op_sel_hi:[1,0] neg_lo:[0,1] neg_hi:[0,1]
	v_pk_add_f32 v[0:1], v[0:1], v[2:3] op_sel:[0,1] op_sel_hi:[1,0]
	v_mov_b32_e32 v2, v6
	v_mov_b32_e32 v3, v1
	;; [unrolled: 1-line block ×3, first 2 shown]
	ds_write2_b64 v131, v[4:5], v[2:3] offset1:13
	ds_write_b64 v131, v[0:1] offset:208
	v_pk_add_f32 v[0:1], v[40:41], v[30:31]
	v_pk_add_f32 v[2:3], v[40:41], v[30:31] neg_lo:[0,1] neg_hi:[0,1]
	v_pk_fma_f32 v[0:1], v[0:1], 0.5, v[32:33] op_sel_hi:[1,0,1] neg_lo:[1,0,0] neg_hi:[1,0,0]
	v_pk_mul_f32 v[2:3], v[2:3], s[4:5] op_sel_hi:[1,0]
	s_mov_b32 s6, 0x3f248dbb
	v_pk_add_f32 v[4:5], v[0:1], v[2:3] op_sel:[0,1] op_sel_hi:[1,0] neg_lo:[0,1] neg_hi:[0,1]
	v_pk_add_f32 v[0:1], v[0:1], v[2:3] op_sel:[0,1] op_sel_hi:[1,0]
	v_mov_b32_e32 v2, v4
	v_mov_b32_e32 v3, v1
	;; [unrolled: 1-line block ×3, first 2 shown]
	ds_write2_b64 v130, v[42:43], v[2:3] offset1:13
	ds_write_b64 v130, v[0:1] offset:208
	s_waitcnt lgkmcnt(0)
	s_barrier
	ds_read2_b64 v[0:3], v129 offset1:39
	ds_read2_b64 v[4:7], v129 offset0:78 offset1:117
	ds_read2_b64 v[8:11], v129 offset0:156 offset1:195
	;; [unrolled: 1-line block ×3, first 2 shown]
	ds_read_b64 v[32:33], v129 offset:2496
	s_waitcnt lgkmcnt(4)
	v_pk_mul_f32 v[24:25], v[24:25], v[2:3]
	s_waitcnt lgkmcnt(3)
	v_pk_mul_f32 v[20:21], v[20:21], v[6:7]
	v_pk_fma_f32 v[34:35], v[72:73], v[2:3], v[24:25] op_sel:[0,0,1] op_sel_hi:[1,1,0]
	v_pk_fma_f32 v[2:3], v[72:73], v[2:3], v[24:25] op_sel:[0,0,1] op_sel_hi:[1,1,0] neg_lo:[0,0,1] neg_hi:[0,0,1]
	v_pk_mul_f32 v[24:25], v[26:27], v[4:5]
	s_waitcnt lgkmcnt(0)
	v_pk_mul_f32 v[14:15], v[14:15], v[32:33]
	v_pk_fma_f32 v[26:27], v[70:71], v[4:5], v[24:25] op_sel:[0,0,1] op_sel_hi:[1,1,0]
	v_pk_fma_f32 v[4:5], v[70:71], v[4:5], v[24:25] op_sel:[0,0,1] op_sel_hi:[1,1,0] neg_lo:[0,0,1] neg_hi:[0,0,1]
	v_pk_fma_f32 v[24:25], v[68:69], v[6:7], v[20:21] op_sel:[0,0,1] op_sel_hi:[1,1,0]
	v_pk_fma_f32 v[6:7], v[68:69], v[6:7], v[20:21] op_sel:[0,0,1] op_sel_hi:[1,1,0] neg_lo:[0,0,1] neg_hi:[0,0,1]
	v_mov_b32_e32 v27, v5
	v_mov_b32_e32 v25, v7
	v_pk_mul_f32 v[6:7], v[22:23], v[8:9]
	v_mov_b32_e32 v4, v5
	v_pk_fma_f32 v[20:21], v[66:67], v[8:9], v[6:7] op_sel:[0,0,1] op_sel_hi:[1,1,0]
	v_pk_fma_f32 v[6:7], v[66:67], v[8:9], v[6:7] op_sel:[0,0,1] op_sel_hi:[1,1,0] neg_lo:[0,0,1] neg_hi:[0,0,1]
	v_mov_b32_e32 v5, v34
	v_mov_b32_e32 v21, v7
	v_pk_mul_f32 v[6:7], v[16:17], v[10:11]
	v_pk_fma_f32 v[16:17], v[60:61], v[32:33], v[14:15] op_sel:[0,0,1] op_sel_hi:[1,1,0]
	v_pk_fma_f32 v[8:9], v[58:59], v[10:11], v[6:7] op_sel:[0,0,1] op_sel_hi:[1,1,0]
	v_pk_fma_f32 v[6:7], v[58:59], v[10:11], v[6:7] op_sel:[0,0,1] op_sel_hi:[1,1,0] neg_lo:[0,0,1] neg_hi:[0,0,1]
	v_pk_fma_f32 v[14:15], v[60:61], v[32:33], v[14:15] op_sel:[0,0,1] op_sel_hi:[1,1,0] neg_lo:[0,0,1] neg_hi:[0,0,1]
	v_mov_b32_e32 v9, v7
	v_pk_mul_f32 v[6:7], v[18:19], v[28:29]
	s_mov_b32 s7, 0x3f7c1c5c
	v_pk_fma_f32 v[10:11], v[64:65], v[28:29], v[6:7] op_sel:[0,0,1] op_sel_hi:[1,1,0]
	v_pk_fma_f32 v[6:7], v[64:65], v[28:29], v[6:7] op_sel:[0,0,1] op_sel_hi:[1,1,0] neg_lo:[0,0,1] neg_hi:[0,0,1]
	v_mov_b32_e32 v35, v3
	v_mov_b32_e32 v11, v7
	v_pk_mul_f32 v[6:7], v[12:13], v[30:31]
	v_mov_b32_e32 v17, v15
	v_pk_fma_f32 v[12:13], v[62:63], v[30:31], v[6:7] op_sel:[0,0,1] op_sel_hi:[1,1,0]
	v_pk_fma_f32 v[6:7], v[62:63], v[30:31], v[6:7] op_sel:[0,0,1] op_sel_hi:[1,1,0] neg_lo:[0,0,1] neg_hi:[0,0,1]
	v_mov_b32_e32 v2, v3
	v_mov_b32_e32 v13, v7
	;; [unrolled: 1-line block ×7, first 2 shown]
	v_pk_add_f32 v[4:5], v[4:5], v[6:7] neg_lo:[0,1] neg_hi:[0,1]
	s_mov_b32 s10, s7
	s_mov_b32 s11, s6
	v_pk_add_f32 v[28:29], v[24:25], v[10:11]
	v_pk_add_f32 v[2:3], v[2:3], v[14:15] neg_lo:[0,1] neg_hi:[0,1]
	v_pk_add_f32 v[6:7], v[24:25], v[10:11] neg_lo:[0,1] neg_hi:[0,1]
	v_pk_mul_f32 v[10:11], v[4:5], s[10:11]
	v_pk_add_f32 v[18:19], v[34:35], v[16:17]
	v_pk_add_f32 v[22:23], v[26:27], v[12:13]
	v_pk_mul_f32 v[6:7], v[6:7], s[4:5] op_sel_hi:[1,0]
	v_pk_fma_f32 v[10:11], v[2:3], s[6:7], v[10:11]
	v_pk_add_f32 v[12:13], v[20:21], v[8:9] neg_lo:[0,1] neg_hi:[0,1]
	s_mov_b32 s10, 0x3eaf1d44
	v_pk_add_f32 v[30:31], v[22:23], v[18:19]
	v_pk_add_f32 v[10:11], v[6:7], v[10:11] op_sel:[1,0] op_sel_hi:[0,1]
	v_pk_mul_f32 v[14:15], v[12:13], s[10:11] op_sel_hi:[1,0]
	s_mov_b32 s14, 0x3f441b7d
	v_pk_add_f32 v[32:33], v[28:29], v[30:31]
	v_pk_add_f32 v[10:11], v[14:15], v[10:11] op_sel:[1,0] op_sel_hi:[0,1]
	v_pk_fma_f32 v[14:15], v[18:19], s[14:15], v[0:1] op_sel_hi:[1,0,1]
	s_mov_b32 s16, 0x3e31d0d4
	v_pk_add_f32 v[32:33], v[20:21], v[32:33]
	v_pk_fma_f32 v[14:15], v[22:23], s[16:17], v[14:15] op_sel_hi:[1,0,1]
	v_pk_add_f32 v[32:33], v[8:9], v[32:33]
	v_pk_fma_f32 v[14:15], v[28:29], 0.5, v[14:15] op_sel_hi:[1,0,1] neg_lo:[1,0,0] neg_hi:[1,0,0]
	v_pk_add_f32 v[8:9], v[20:21], v[8:9]
	s_mov_b32 s18, 0x3f708fb2
	v_pk_fma_f32 v[14:15], v[8:9], s[18:19], v[14:15] op_sel_hi:[1,0,1] neg_lo:[1,0,0] neg_hi:[1,0,0]
	v_mov_b32_e32 v20, v2
	v_pk_add_f32 v[16:17], v[14:15], v[10:11] neg_lo:[0,1] neg_hi:[0,1]
	v_pk_add_f32 v[14:15], v[14:15], v[10:11]
	v_mov_b32_e32 v21, v5
	v_fma_f32 v14, 2.0, v10, v16
	v_mov_b32_e32 v17, v15
	v_fmac_f32_e32 v15, -2.0, v11
	v_pk_mul_f32 v[10:11], v[12:13], s[6:7] op_sel_hi:[1,0]
	s_mov_b32 s6, s7
	v_pk_fma_f32 v[26:27], v[8:9], s[14:15], v[0:1] op_sel_hi:[1,0,1]
	v_pk_fma_f32 v[10:11], v[20:21], s[6:7], v[10:11] op_sel:[0,0,1] op_sel_hi:[1,0,0] neg_lo:[0,0,1] neg_hi:[0,0,1]
	v_pk_fma_f32 v[26:27], v[18:19], s[16:17], v[26:27] op_sel_hi:[1,0,1]
	v_pk_add_f32 v[10:11], v[10:11], v[6:7] op_sel:[0,1] op_sel_hi:[1,0] neg_lo:[0,1] neg_hi:[0,1]
	v_mov_b32_e32 v24, v4
	v_mov_b32_e32 v25, v3
	v_pk_fma_f32 v[26:27], v[28:29], 0.5, v[26:27] op_sel_hi:[1,0,1] neg_lo:[1,0,0] neg_hi:[1,0,0]
	v_pk_add_f32 v[32:33], v[32:33], v[0:1]
	v_pk_fma_f32 v[10:11], v[24:25], s[10:11], v[10:11] op_sel_hi:[1,0,1]
	v_pk_fma_f32 v[26:27], v[22:23], s[18:19], v[26:27] op_sel_hi:[1,0,1] neg_lo:[1,0,0] neg_hi:[1,0,0]
	ds_write_b64 v133, v[32:33]
	v_pk_add_f32 v[32:33], v[26:27], v[10:11] neg_lo:[0,1] neg_hi:[0,1]
	v_pk_add_f32 v[26:27], v[26:27], v[10:11]
	s_nop 0
	v_mov_b32_e32 v33, v27
	ds_write2_b64 v128, v[16:17], v[32:33] offset0:39 offset1:78
	v_mov_b32_e32 v16, v5
	v_mov_b32_e32 v17, v2
	v_pk_add_f32 v[16:17], v[12:13], v[16:17]
	v_mov_b32_e32 v2, v3
	v_mov_b32_e32 v3, v4
	v_fma_f32 v26, 2.0, v10, v32
	v_fmac_f32_e32 v27, -2.0, v11
	v_pk_add_f32 v[10:11], v[28:29], v[0:1]
	v_pk_add_f32 v[2:3], v[16:17], v[2:3] neg_lo:[0,1] neg_hi:[0,1]
	v_pk_add_f32 v[4:5], v[8:9], v[30:31]
	v_pk_mul_f32 v[2:3], v[2:3], s[4:5] op_sel_hi:[1,0]
	v_pk_fma_f32 v[4:5], v[4:5], 0.5, v[10:11] op_sel_hi:[1,0,1] neg_lo:[1,0,0] neg_hi:[1,0,0]
	v_pk_fma_f32 v[0:1], v[22:23], s[14:15], v[0:1] op_sel_hi:[1,0,1]
	v_pk_add_f32 v[10:11], v[4:5], v[2:3] op_sel:[0,1] op_sel_hi:[1,0] neg_lo:[0,1] neg_hi:[0,1]
	v_pk_add_f32 v[4:5], v[4:5], v[2:3] op_sel:[0,1] op_sel_hi:[1,0]
	s_mov_b32 s4, 0xbf248dbb
	v_fma_f32 v4, 2.0, v3, v10
	v_mov_b32_e32 v11, v5
	v_fmac_f32_e32 v5, -2.0, v2
	v_pk_mul_f32 v[2:3], v[12:13], s[6:7] op_sel_hi:[1,0]
	v_pk_fma_f32 v[0:1], v[8:9], s[16:17], v[0:1] op_sel_hi:[1,0,1]
	v_pk_fma_f32 v[2:3], v[24:25], s[4:5], v[2:3] op_sel:[0,0,1] op_sel_hi:[1,0,0] neg_lo:[0,0,1] neg_hi:[0,0,1]
	v_pk_fma_f32 v[0:1], v[28:29], 0.5, v[0:1] op_sel_hi:[1,0,1] neg_lo:[1,0,0] neg_hi:[1,0,0]
	v_pk_add_f32 v[2:3], v[6:7], v[2:3] op_sel:[1,0] op_sel_hi:[0,1]
	v_pk_fma_f32 v[2:3], v[20:21], s[10:11], v[2:3] op_sel_hi:[1,0,1]
	v_pk_fma_f32 v[0:1], v[18:19], s[18:19], v[0:1] op_sel_hi:[1,0,1] neg_lo:[1,0,0] neg_hi:[1,0,0]
	s_nop 0
	v_pk_add_f32 v[6:7], v[0:1], v[2:3] neg_lo:[0,1] neg_hi:[0,1]
	v_pk_add_f32 v[0:1], v[0:1], v[2:3]
	s_nop 0
	v_fma_f32 v0, 2.0, v2, v6
	v_mov_b32_e32 v7, v1
	v_fmac_f32_e32 v1, -2.0, v3
	ds_write2_b64 v128, v[10:11], v[6:7] offset0:117 offset1:156
	ds_write2_b64 v128, v[0:1], v[4:5] offset0:195 offset1:234
	v_add_u32_e32 v0, 0x800, v128
	ds_write2_b64 v0, v[26:27], v[14:15] offset0:17 offset1:56
	s_waitcnt lgkmcnt(0)
	s_barrier
	s_and_b64 exec, exec, vcc
	s_cbranch_execz .LBB0_15
; %bb.14:
	global_load_dwordx2 v[10:11], v49, s[8:9]
	global_load_dwordx2 v[12:13], v49, s[8:9] offset:216
	global_load_dwordx2 v[14:15], v49, s[8:9] offset:432
	;; [unrolled: 1-line block ×4, first 2 shown]
	ds_read_b64 v[24:25], v133
	ds_read2_b64 v[2:5], v128 offset0:27 offset1:54
	ds_read2_b64 v[6:9], v128 offset0:81 offset1:108
	global_load_dwordx2 v[28:29], v49, s[8:9] offset:1080
	global_load_dwordx2 v[30:31], v49, s[8:9] offset:1296
	global_load_dwordx2 v[32:33], v49, s[8:9] offset:1512
	v_mad_u64_u32 v[26:27], s[6:7], s0, v50, 0
	v_mov_b32_e32 v36, v27
	v_mad_u64_u32 v[36:37], s[6:7], s1, v50, v[36:37]
	v_mov_b32_e32 v27, v36
	;; [unrolled: 2-line block ×4, first 2 shown]
	v_mov_b32_e32 v19, s13
	v_mov_b32_e32 v23, v34
	v_lshl_add_u64 v[18:19], v[22:23], 3, v[18:19]
	s_mov_b32 s4, 0xc201756d
	v_mov_b32_e32 v38, 0xd8
	v_lshl_add_u64 v[18:19], v[26:27], 3, v[18:19]
	s_mov_b32 s5, 0x3f6756ca
	s_mul_i32 s2, s1, 0xd8
	v_mad_u64_u32 v[22:23], s[6:7], s0, v38, v[18:19]
	v_add_u32_e32 v23, s2, v23
	v_mad_u64_u32 v[26:27], s[6:7], s0, v38, v[22:23]
	v_add_u32_e32 v27, s2, v27
	;; [unrolled: 2-line block ×3, first 2 shown]
	s_waitcnt vmcnt(7) lgkmcnt(2)
	v_mul_f32_e32 v1, v25, v11
	s_waitcnt vmcnt(6) lgkmcnt(1)
	v_mul_f32_e32 v36, v3, v13
	s_waitcnt vmcnt(5)
	v_mul_f32_e32 v37, v5, v15
	v_mul_f32_e32 v11, v24, v11
	;; [unrolled: 1-line block ×3, first 2 shown]
	s_waitcnt vmcnt(4) lgkmcnt(0)
	v_mul_f32_e32 v39, v7, v17
	v_mul_f32_e32 v17, v6, v17
	v_fmac_f32_e32 v36, v2, v12
	v_fmac_f32_e32 v37, v4, v14
	;; [unrolled: 1-line block ×3, first 2 shown]
	v_fma_f32 v10, v10, v25, -v11
	v_fma_f32 v11, v12, v3, -v13
	v_fmac_f32_e32 v39, v6, v16
	v_fma_f32 v24, v16, v7, -v17
	v_cvt_f64_f32_e32 v[6:7], v36
	v_cvt_f64_f32_e32 v[12:13], v37
	global_load_dwordx2 v[36:37], v49, s[8:9] offset:1728
	v_mul_f32_e32 v15, v4, v15
	v_fma_f32 v14, v14, v5, -v15
	v_cvt_f64_f32_e32 v[2:3], v1
	v_cvt_f64_f32_e32 v[4:5], v10
	v_mul_f64 v[2:3], v[2:3], s[4:5]
	v_mul_f64 v[4:5], v[4:5], s[4:5]
	v_mul_f64 v[6:7], v[6:7], s[4:5]
	v_mul_f64 v[12:13], v[12:13], s[4:5]
	v_cvt_f64_f32_e32 v[10:11], v11
	v_cvt_f32_f64_e32 v2, v[2:3]
	v_cvt_f32_f64_e32 v3, v[4:5]
	;; [unrolled: 1-line block ×4, first 2 shown]
	global_load_dwordx2 v[12:13], v49, s[8:9] offset:1944
	v_cvt_f64_f32_e32 v[14:15], v14
	v_cvt_f64_f32_e32 v[16:17], v39
	;; [unrolled: 1-line block ×3, first 2 shown]
	v_mul_f64 v[10:11], v[10:11], s[4:5]
	s_waitcnt vmcnt(5)
	v_mul_f32_e32 v1, v9, v21
	v_mul_f64 v[14:15], v[14:15], s[4:5]
	v_mul_f64 v[16:17], v[16:17], s[4:5]
	;; [unrolled: 1-line block ×3, first 2 shown]
	v_cvt_f32_f64_e32 v5, v[10:11]
	v_fmac_f32_e32 v1, v8, v20
	v_cvt_f32_f64_e32 v7, v[14:15]
	v_cvt_f32_f64_e32 v10, v[16:17]
	;; [unrolled: 1-line block ×3, first 2 shown]
	global_store_dwordx2 v[18:19], v[2:3], off
	global_store_dwordx2 v[22:23], v[4:5], off
	;; [unrolled: 1-line block ×4, first 2 shown]
	v_cvt_f64_f32_e32 v[2:3], v1
	v_mul_f32_e32 v1, v8, v21
	v_fma_f32 v1, v20, v9, -v1
	global_load_dwordx2 v[8:9], v49, s[8:9] offset:2160
	global_load_dwordx2 v[14:15], v49, s[8:9] offset:2376
	v_mul_f64 v[2:3], v[2:3], s[4:5]
	v_cvt_f32_f64_e32 v6, v[2:3]
	v_cvt_f64_f32_e32 v[2:3], v1
	v_mul_f64 v[2:3], v[2:3], s[4:5]
	v_cvt_f32_f64_e32 v7, v[2:3]
	ds_read2_b64 v[2:5], v128 offset0:135 offset1:162
	v_mad_u64_u32 v[10:11], s[6:7], s0, v38, v[34:35]
	v_add_u32_e32 v11, s2, v11
	global_store_dwordx2 v[10:11], v[6:7], off
	s_waitcnt vmcnt(11) lgkmcnt(0)
	v_mul_f32_e32 v1, v3, v29
	v_fmac_f32_e32 v1, v2, v28
	v_cvt_f64_f32_e32 v[6:7], v1
	v_mul_f32_e32 v1, v2, v29
	v_fma_f32 v1, v28, v3, -v1
	v_cvt_f64_f32_e32 v[2:3], v1
	s_waitcnt vmcnt(10)
	v_mul_f32_e32 v1, v5, v31
	v_mul_f64 v[6:7], v[6:7], s[4:5]
	v_mul_f64 v[2:3], v[2:3], s[4:5]
	v_fmac_f32_e32 v1, v4, v30
	v_cvt_f32_f64_e32 v6, v[6:7]
	v_cvt_f32_f64_e32 v7, v[2:3]
	v_mad_u64_u32 v[10:11], s[6:7], s0, v38, v[10:11]
	v_cvt_f64_f32_e32 v[2:3], v1
	v_mul_f32_e32 v1, v4, v31
	v_add_u32_e32 v11, s2, v11
	v_mul_f64 v[2:3], v[2:3], s[4:5]
	v_fma_f32 v1, v30, v5, -v1
	global_store_dwordx2 v[10:11], v[6:7], off
	v_cvt_f32_f64_e32 v6, v[2:3]
	v_cvt_f64_f32_e32 v[2:3], v1
	v_mul_f64 v[2:3], v[2:3], s[4:5]
	v_cvt_f32_f64_e32 v7, v[2:3]
	ds_read2_b64 v[2:5], v128 offset0:189 offset1:216
	v_mad_u64_u32 v[10:11], s[6:7], s0, v38, v[10:11]
	v_add_u32_e32 v11, s2, v11
	global_store_dwordx2 v[10:11], v[6:7], off
	s_waitcnt vmcnt(11) lgkmcnt(0)
	v_mul_f32_e32 v1, v3, v33
	v_fmac_f32_e32 v1, v2, v32
	v_cvt_f64_f32_e32 v[6:7], v1
	v_mul_f32_e32 v1, v2, v33
	v_fma_f32 v1, v32, v3, -v1
	v_cvt_f64_f32_e32 v[2:3], v1
	s_waitcnt vmcnt(10)
	v_mul_f32_e32 v1, v5, v37
	v_mul_f64 v[6:7], v[6:7], s[4:5]
	v_mul_f64 v[2:3], v[2:3], s[4:5]
	v_fmac_f32_e32 v1, v4, v36
	v_cvt_f32_f64_e32 v6, v[6:7]
	v_cvt_f32_f64_e32 v7, v[2:3]
	v_mad_u64_u32 v[10:11], s[6:7], s0, v38, v[10:11]
	v_cvt_f64_f32_e32 v[2:3], v1
	v_mul_f32_e32 v1, v4, v37
	v_add_u32_e32 v11, s2, v11
	v_mul_f64 v[2:3], v[2:3], s[4:5]
	v_fma_f32 v1, v36, v5, -v1
	global_store_dwordx2 v[10:11], v[6:7], off
	v_cvt_f32_f64_e32 v6, v[2:3]
	v_cvt_f64_f32_e32 v[2:3], v1
	v_mul_f64 v[2:3], v[2:3], s[4:5]
	v_add_u32_e32 v1, 0x400, v128
	v_cvt_f32_f64_e32 v7, v[2:3]
	ds_read2_b64 v[2:5], v1 offset0:115 offset1:142
	v_mad_u64_u32 v[10:11], s[6:7], s0, v38, v[10:11]
	v_add_u32_e32 v11, s2, v11
	global_store_dwordx2 v[10:11], v[6:7], off
	s_waitcnt vmcnt(11) lgkmcnt(0)
	v_mul_f32_e32 v1, v3, v13
	v_fmac_f32_e32 v1, v2, v12
	v_cvt_f64_f32_e32 v[6:7], v1
	v_mul_f32_e32 v1, v2, v13
	v_fma_f32 v1, v12, v3, -v1
	v_cvt_f64_f32_e32 v[2:3], v1
	v_mul_f64 v[6:7], v[6:7], s[4:5]
	v_mul_f64 v[2:3], v[2:3], s[4:5]
	v_cvt_f32_f64_e32 v6, v[6:7]
	s_waitcnt vmcnt(6)
	v_mul_f32_e32 v1, v5, v9
	v_fmac_f32_e32 v1, v4, v8
	v_cvt_f32_f64_e32 v7, v[2:3]
	v_mad_u64_u32 v[10:11], s[6:7], s0, v38, v[10:11]
	v_cvt_f64_f32_e32 v[2:3], v1
	v_mul_f32_e32 v1, v4, v9
	v_add_u32_e32 v11, s2, v11
	v_mul_f64 v[2:3], v[2:3], s[4:5]
	v_fma_f32 v1, v8, v5, -v1
	global_store_dwordx2 v[10:11], v[6:7], off
	v_cvt_f32_f64_e32 v6, v[2:3]
	v_cvt_f64_f32_e32 v[2:3], v1
	v_mul_f64 v[2:3], v[2:3], s[4:5]
	v_cvt_f32_f64_e32 v7, v[2:3]
	ds_read2_b64 v[0:3], v0 offset0:41 offset1:68
	v_mad_u64_u32 v[4:5], s[6:7], s0, v38, v[10:11]
	v_add_u32_e32 v5, s2, v5
	global_store_dwordx2 v[4:5], v[6:7], off
	s_waitcnt vmcnt(7) lgkmcnt(0)
	v_mul_f32_e32 v6, v1, v15
	v_fmac_f32_e32 v6, v0, v14
	v_mul_f32_e32 v0, v0, v15
	v_fma_f32 v0, v14, v1, -v0
	v_cvt_f64_f32_e32 v[6:7], v6
	v_cvt_f64_f32_e32 v[0:1], v0
	v_mul_f64 v[6:7], v[6:7], s[4:5]
	v_mul_f64 v[0:1], v[0:1], s[4:5]
	v_cvt_f32_f64_e32 v6, v[6:7]
	v_cvt_f32_f64_e32 v7, v[0:1]
	v_mad_u64_u32 v[0:1], s[6:7], s0, v38, v[4:5]
	v_add_u32_e32 v1, s2, v1
	global_store_dwordx2 v[0:1], v[6:7], off
	global_load_dwordx2 v[4:5], v49, s[8:9] offset:2592
	v_mad_u64_u32 v[0:1], s[0:1], s0, v38, v[0:1]
	v_add_u32_e32 v1, s2, v1
	s_waitcnt vmcnt(0)
	v_mul_f32_e32 v6, v3, v5
	v_fmac_f32_e32 v6, v2, v4
	v_mul_f32_e32 v2, v2, v5
	v_fma_f32 v2, v4, v3, -v2
	v_cvt_f64_f32_e32 v[6:7], v6
	v_cvt_f64_f32_e32 v[2:3], v2
	v_mul_f64 v[6:7], v[6:7], s[4:5]
	v_mul_f64 v[2:3], v[2:3], s[4:5]
	v_cvt_f32_f64_e32 v6, v[6:7]
	v_cvt_f32_f64_e32 v7, v[2:3]
	global_store_dwordx2 v[0:1], v[6:7], off
.LBB0_15:
	s_endpgm
	.section	.rodata,"a",@progbits
	.p2align	6, 0x0
	.amdhsa_kernel bluestein_single_fwd_len351_dim1_sp_op_CI_CI
		.amdhsa_group_segment_fixed_size 8424
		.amdhsa_private_segment_fixed_size 0
		.amdhsa_kernarg_size 104
		.amdhsa_user_sgpr_count 2
		.amdhsa_user_sgpr_dispatch_ptr 0
		.amdhsa_user_sgpr_queue_ptr 0
		.amdhsa_user_sgpr_kernarg_segment_ptr 1
		.amdhsa_user_sgpr_dispatch_id 0
		.amdhsa_user_sgpr_kernarg_preload_length 0
		.amdhsa_user_sgpr_kernarg_preload_offset 0
		.amdhsa_user_sgpr_private_segment_size 0
		.amdhsa_uses_dynamic_stack 0
		.amdhsa_enable_private_segment 0
		.amdhsa_system_sgpr_workgroup_id_x 1
		.amdhsa_system_sgpr_workgroup_id_y 0
		.amdhsa_system_sgpr_workgroup_id_z 0
		.amdhsa_system_sgpr_workgroup_info 0
		.amdhsa_system_vgpr_workitem_id 0
		.amdhsa_next_free_vgpr 218
		.amdhsa_next_free_sgpr 42
		.amdhsa_accum_offset 220
		.amdhsa_reserve_vcc 1
		.amdhsa_float_round_mode_32 0
		.amdhsa_float_round_mode_16_64 0
		.amdhsa_float_denorm_mode_32 3
		.amdhsa_float_denorm_mode_16_64 3
		.amdhsa_dx10_clamp 1
		.amdhsa_ieee_mode 1
		.amdhsa_fp16_overflow 0
		.amdhsa_tg_split 0
		.amdhsa_exception_fp_ieee_invalid_op 0
		.amdhsa_exception_fp_denorm_src 0
		.amdhsa_exception_fp_ieee_div_zero 0
		.amdhsa_exception_fp_ieee_overflow 0
		.amdhsa_exception_fp_ieee_underflow 0
		.amdhsa_exception_fp_ieee_inexact 0
		.amdhsa_exception_int_div_zero 0
	.end_amdhsa_kernel
	.text
.Lfunc_end0:
	.size	bluestein_single_fwd_len351_dim1_sp_op_CI_CI, .Lfunc_end0-bluestein_single_fwd_len351_dim1_sp_op_CI_CI
                                        ; -- End function
	.section	.AMDGPU.csdata,"",@progbits
; Kernel info:
; codeLenInByte = 11216
; NumSgprs: 48
; NumVgprs: 218
; NumAgprs: 0
; TotalNumVgprs: 218
; ScratchSize: 0
; MemoryBound: 0
; FloatMode: 240
; IeeeMode: 1
; LDSByteSize: 8424 bytes/workgroup (compile time only)
; SGPRBlocks: 5
; VGPRBlocks: 27
; NumSGPRsForWavesPerEU: 48
; NumVGPRsForWavesPerEU: 218
; AccumOffset: 220
; Occupancy: 2
; WaveLimiterHint : 1
; COMPUTE_PGM_RSRC2:SCRATCH_EN: 0
; COMPUTE_PGM_RSRC2:USER_SGPR: 2
; COMPUTE_PGM_RSRC2:TRAP_HANDLER: 0
; COMPUTE_PGM_RSRC2:TGID_X_EN: 1
; COMPUTE_PGM_RSRC2:TGID_Y_EN: 0
; COMPUTE_PGM_RSRC2:TGID_Z_EN: 0
; COMPUTE_PGM_RSRC2:TIDIG_COMP_CNT: 0
; COMPUTE_PGM_RSRC3_GFX90A:ACCUM_OFFSET: 54
; COMPUTE_PGM_RSRC3_GFX90A:TG_SPLIT: 0
	.text
	.p2alignl 6, 3212836864
	.fill 256, 4, 3212836864
	.type	__hip_cuid_5221b27e4c60c8c9,@object ; @__hip_cuid_5221b27e4c60c8c9
	.section	.bss,"aw",@nobits
	.globl	__hip_cuid_5221b27e4c60c8c9
__hip_cuid_5221b27e4c60c8c9:
	.byte	0                               ; 0x0
	.size	__hip_cuid_5221b27e4c60c8c9, 1

	.ident	"AMD clang version 19.0.0git (https://github.com/RadeonOpenCompute/llvm-project roc-6.4.0 25133 c7fe45cf4b819c5991fe208aaa96edf142730f1d)"
	.section	".note.GNU-stack","",@progbits
	.addrsig
	.addrsig_sym __hip_cuid_5221b27e4c60c8c9
	.amdgpu_metadata
---
amdhsa.kernels:
  - .agpr_count:     0
    .args:
      - .actual_access:  read_only
        .address_space:  global
        .offset:         0
        .size:           8
        .value_kind:     global_buffer
      - .actual_access:  read_only
        .address_space:  global
        .offset:         8
        .size:           8
        .value_kind:     global_buffer
      - .actual_access:  read_only
        .address_space:  global
        .offset:         16
        .size:           8
        .value_kind:     global_buffer
      - .actual_access:  read_only
        .address_space:  global
        .offset:         24
        .size:           8
        .value_kind:     global_buffer
      - .actual_access:  read_only
        .address_space:  global
        .offset:         32
        .size:           8
        .value_kind:     global_buffer
      - .offset:         40
        .size:           8
        .value_kind:     by_value
      - .address_space:  global
        .offset:         48
        .size:           8
        .value_kind:     global_buffer
      - .address_space:  global
        .offset:         56
        .size:           8
        .value_kind:     global_buffer
      - .address_space:  global
        .offset:         64
        .size:           8
        .value_kind:     global_buffer
      - .address_space:  global
        .offset:         72
        .size:           8
        .value_kind:     global_buffer
      - .offset:         80
        .size:           4
        .value_kind:     by_value
      - .address_space:  global
        .offset:         88
        .size:           8
        .value_kind:     global_buffer
      - .address_space:  global
        .offset:         96
        .size:           8
        .value_kind:     global_buffer
    .group_segment_fixed_size: 8424
    .kernarg_segment_align: 8
    .kernarg_segment_size: 104
    .language:       OpenCL C
    .language_version:
      - 2
      - 0
    .max_flat_workgroup_size: 117
    .name:           bluestein_single_fwd_len351_dim1_sp_op_CI_CI
    .private_segment_fixed_size: 0
    .sgpr_count:     48
    .sgpr_spill_count: 0
    .symbol:         bluestein_single_fwd_len351_dim1_sp_op_CI_CI.kd
    .uniform_work_group_size: 1
    .uses_dynamic_stack: false
    .vgpr_count:     218
    .vgpr_spill_count: 0
    .wavefront_size: 64
amdhsa.target:   amdgcn-amd-amdhsa--gfx950
amdhsa.version:
  - 1
  - 2
...

	.end_amdgpu_metadata
